;; amdgpu-corpus repo=ROCm/rocFFT kind=compiled arch=gfx950 opt=O3
	.text
	.amdgcn_target "amdgcn-amd-amdhsa--gfx950"
	.amdhsa_code_object_version 6
	.protected	bluestein_single_fwd_len1512_dim1_dp_op_CI_CI ; -- Begin function bluestein_single_fwd_len1512_dim1_dp_op_CI_CI
	.globl	bluestein_single_fwd_len1512_dim1_dp_op_CI_CI
	.p2align	8
	.type	bluestein_single_fwd_len1512_dim1_dp_op_CI_CI,@function
bluestein_single_fwd_len1512_dim1_dp_op_CI_CI: ; @bluestein_single_fwd_len1512_dim1_dp_op_CI_CI
; %bb.0:
	s_load_dwordx4 s[12:15], s[0:1], 0x28
	v_mul_u32_u24_e32 v1, 0x411, v0
	v_add_u32_sdwa v152, s2, v1 dst_sel:DWORD dst_unused:UNUSED_PAD src0_sel:DWORD src1_sel:WORD_1
	v_mov_b32_e32 v153, 0
	s_waitcnt lgkmcnt(0)
	v_cmp_gt_u64_e32 vcc, s[12:13], v[152:153]
	s_and_saveexec_b64 s[2:3], vcc
	s_cbranch_execz .LBB0_10
; %bb.1:
	s_load_dwordx4 s[4:7], s[0:1], 0x18
	s_load_dwordx4 s[8:11], s[0:1], 0x0
	v_mov_b32_e32 v2, s14
	v_mov_b32_e32 v3, s15
	;; [unrolled: 1-line block ×3, first 2 shown]
	s_waitcnt lgkmcnt(0)
	s_load_dwordx4 s[12:15], s[4:5], 0x0
	v_mul_lo_u16_sdwa v1, v1, v4 dst_sel:DWORD dst_unused:UNUSED_PAD src0_sel:WORD_1 src1_sel:DWORD
	v_sub_u16_e32 v254, v0, v1
	v_mov_b32_e32 v46, 0x2f40
	v_lshlrev_b32_e32 v252, 4, v254
	s_waitcnt lgkmcnt(0)
	v_mad_u64_u32 v[0:1], s[2:3], s14, v152, 0
	v_mov_b32_e32 v4, v1
	v_mad_u64_u32 v[4:5], s[2:3], s15, v152, v[4:5]
	v_mov_b32_e32 v1, v4
	v_mad_u64_u32 v[4:5], s[2:3], s12, v254, 0
	v_mov_b32_e32 v6, v5
	v_mad_u64_u32 v[6:7], s[2:3], s13, v254, v[6:7]
	v_mov_b32_e32 v5, v6
	v_lshl_add_u64 v[0:1], v[0:1], 4, v[2:3]
	v_lshl_add_u64 v[4:5], v[4:5], 4, v[0:1]
	v_mov_b32_e32 v253, v153
	v_mad_u64_u32 v[12:13], s[2:3], s12, v46, v[4:5]
	v_lshl_add_u64 v[36:37], s[8:9], 0, v[252:253]
	s_mul_i32 s2, s13, 0x2f40
	s_movk_i32 s3, 0x2000
	v_add_u32_e32 v13, s2, v13
	v_add_co_u32_e32 v38, vcc, s3, v36
	v_mov_b32_e32 v47, 0xffffd4b0
	s_mul_i32 s3, s13, 0xffffd4b0
	v_mad_u64_u32 v[14:15], s[4:5], s12, v47, v[12:13]
	s_sub_i32 s3, s3, s12
	global_load_dwordx4 v[0:3], v[4:5], off
	global_load_dwordx4 v[56:59], v252, s[8:9]
	v_addc_co_u32_e32 v39, vcc, 0, v37, vcc
	v_add_u32_e32 v15, s3, v15
	global_load_dwordx4 v[52:55], v[38:39], off offset:3904
	v_mad_u64_u32 v[16:17], s[4:5], s12, v46, v[14:15]
	s_movk_i32 s4, 0x3000
	global_load_dwordx4 v[8:11], v[12:13], off
	global_load_dwordx4 v[4:7], v[14:15], off
	global_load_dwordx4 v[76:79], v252, s[8:9] offset:1008
	v_add_co_u32_e32 v42, vcc, s4, v36
	v_add_u32_e32 v17, s2, v17
	s_nop 0
	v_addc_co_u32_e32 v43, vcc, 0, v37, vcc
	global_load_dwordx4 v[90:93], v[42:43], off offset:816
	global_load_dwordx4 v[12:15], v[16:17], off
	v_mad_u64_u32 v[20:21], s[4:5], s12, v47, v[16:17]
	v_add_u32_e32 v21, s3, v21
	global_load_dwordx4 v[16:19], v[20:21], off
	global_load_dwordx4 v[68:71], v252, s[8:9] offset:2016
	v_mad_u64_u32 v[24:25], s[4:5], s12, v46, v[20:21]
	v_add_u32_e32 v25, s2, v25
	global_load_dwordx4 v[20:23], v[24:25], off
	global_load_dwordx4 v[64:67], v[42:43], off offset:1824
	v_mad_u64_u32 v[28:29], s[4:5], s12, v47, v[24:25]
	v_add_u32_e32 v29, s3, v29
	global_load_dwordx4 v[24:27], v[28:29], off
	global_load_dwordx4 v[72:75], v252, s[8:9] offset:3024
	v_mad_u64_u32 v[32:33], s[4:5], s12, v46, v[28:29]
	v_add_u32_e32 v33, s2, v33
	global_load_dwordx4 v[28:31], v[32:33], off
	global_load_dwordx4 v[86:89], v[42:43], off offset:2832
	v_mad_u64_u32 v[44:45], s[4:5], s12, v47, v[32:33]
	v_add_u32_e32 v45, s3, v45
	global_load_dwordx4 v[60:63], v252, s[8:9] offset:4032
	global_load_dwordx4 v[32:35], v[44:45], off
	s_mov_b32 s4, 0
	v_mov_b32_e32 v255, s4
	s_mov_b64 s[14:15], 0x7e
	s_load_dwordx4 s[4:7], s[6:7], 0x0
	global_load_dwordx4 v[82:85], v[38:39], off offset:2896
	s_movk_i32 s13, 0x1000
	v_lshl_add_u64 v[40:41], v[254:255], 0, 63
	v_lshlrev_b32_e32 v253, 5, v254
	v_accvgpr_write_b32 a24, v152
                                        ; implicit-def: $vgpr192_vgpr193
                                        ; implicit-def: $vgpr196_vgpr197
                                        ; implicit-def: $vgpr176_vgpr177
                                        ; implicit-def: $vgpr184_vgpr185
	s_waitcnt vmcnt(17)
	scratch_store_dwordx4 off, v[56:59], off offset:548 ; 16-byte Folded Spill
	v_mul_f64 v[48:49], v[2:3], v[58:59]
	v_mul_f64 v[50:51], v[0:1], v[58:59]
	v_fmac_f64_e32 v[48:49], v[0:1], v[56:57]
	v_fma_f64 v[50:51], v[2:3], v[56:57], -v[50:51]
	ds_write_b128 v252, v[48:51]
	s_waitcnt vmcnt(16)
	v_mul_f64 v[0:1], v[10:11], v[54:55]
	v_mul_f64 v[2:3], v[8:9], v[54:55]
	v_fmac_f64_e32 v[0:1], v[8:9], v[52:53]
	v_fma_f64 v[2:3], v[10:11], v[52:53], -v[2:3]
	ds_write_b128 v252, v[0:3] offset:12096
	s_waitcnt vmcnt(14)
	v_mul_f64 v[0:1], v[6:7], v[78:79]
	v_mul_f64 v[2:3], v[4:5], v[78:79]
	v_fmac_f64_e32 v[0:1], v[4:5], v[76:77]
	v_fma_f64 v[2:3], v[6:7], v[76:77], -v[2:3]
	ds_write_b128 v252, v[0:3] offset:1008
	;; [unrolled: 6-line block ×4, first 2 shown]
	s_waitcnt vmcnt(8)
	v_mul_f64 v[0:1], v[22:23], v[66:67]
	v_mul_f64 v[2:3], v[20:21], v[66:67]
	v_lshl_add_u64 v[48:49], v[254:255], 0, s[14:15]
	v_fmac_f64_e32 v[0:1], v[20:21], v[64:65]
	v_fma_f64 v[2:3], v[22:23], v[64:65], -v[2:3]
	s_mov_b64 s[14:15], 0xbd
	ds_write_b128 v252, v[0:3] offset:14112
	v_lshl_add_u64 v[216:217], v[254:255], 0, s[14:15]
	s_waitcnt vmcnt(6)
	v_mul_f64 v[0:1], v[26:27], v[74:75]
	v_mul_f64 v[2:3], v[24:25], v[74:75]
	v_mad_u64_u32 v[8:9], s[14:15], s12, v46, v[44:45]
	scratch_store_dwordx4 off, v[52:55], off offset:516 ; 16-byte Folded Spill
	scratch_store_dwordx4 off, v[76:79], off offset:496 ; 16-byte Folded Spill
	;; [unrolled: 1-line block ×5, first 2 shown]
	v_fmac_f64_e32 v[0:1], v[24:25], v[72:73]
	scratch_store_dwordx4 off, v[72:75], off offset:396 ; 16-byte Folded Spill
	v_fma_f64 v[2:3], v[26:27], v[72:73], -v[2:3]
	v_add_u32_e32 v9, s2, v9
	global_load_dwordx4 v[4:7], v[8:9], off
	global_load_dwordx4 v[126:129], v[42:43], off offset:3840
	ds_write_b128 v252, v[0:3] offset:3024
	s_waitcnt vmcnt(12)
	v_mul_f64 v[0:1], v[30:31], v[88:89]
	v_mul_f64 v[2:3], v[28:29], v[88:89]
	v_fmac_f64_e32 v[0:1], v[28:29], v[86:87]
	v_fma_f64 v[2:3], v[30:31], v[86:87], -v[2:3]
	s_mov_b64 s[14:15], 0xfc
	ds_write_b128 v252, v[0:3] offset:15120
	v_lshl_add_u64 v[42:43], v[254:255], 0, s[14:15]
	s_waitcnt vmcnt(10)
	v_mul_f64 v[0:1], v[34:35], v[62:63]
	v_mad_u64_u32 v[12:13], s[14:15], s12, v47, v[8:9]
	v_fmac_f64_e32 v[0:1], v[32:33], v[60:61]
	v_mul_f64 v[2:3], v[32:33], v[62:63]
	v_add_u32_e32 v13, s3, v13
	v_add_co_u32_e32 v32, vcc, s13, v36
	v_mad_u64_u32 v[16:17], s[14:15], s12, v46, v[12:13]
	s_nop 0
	v_addc_co_u32_e32 v33, vcc, 0, v37, vcc
	s_movk_i32 s13, 0x4000
	global_load_dwordx4 v[8:11], v[12:13], off
	global_load_dwordx4 v[130:133], v[32:33], off offset:944
	v_add_u32_e32 v17, s2, v17
	v_add_co_u32_e32 v44, vcc, s13, v36
	global_load_dwordx4 v[12:15], v[16:17], off
	s_nop 0
	v_addc_co_u32_e32 v45, vcc, 0, v37, vcc
	global_load_dwordx4 v[66:69], v[44:45], off offset:752
	v_mad_u64_u32 v[16:17], s[14:15], s12, v47, v[16:17]
	v_fma_f64 v[2:3], v[34:35], v[60:61], -v[2:3]
	v_add_u32_e32 v17, s3, v17
	scratch_store_dwordx4 off, v[86:89], off offset:348 ; 16-byte Folded Spill
	scratch_store_dwordx4 off, v[60:63], off offset:316 ; 16-byte Folded Spill
	ds_write_b128 v252, v[0:3] offset:4032
	v_mad_u64_u32 v[20:21], s[14:15], s12, v46, v[16:17]
	global_load_dwordx4 v[0:3], v[16:17], off
	global_load_dwordx4 v[122:125], v[32:33], off offset:1952
	v_add_u32_e32 v21, s2, v21
	v_mad_u64_u32 v[24:25], s[14:15], s12, v47, v[20:21]
	global_load_dwordx4 v[16:19], v[20:21], off
	global_load_dwordx4 v[74:77], v[44:45], off offset:1760
	v_add_u32_e32 v25, s3, v25
	v_mad_u64_u32 v[28:29], s[14:15], s12, v46, v[24:25]
	global_load_dwordx4 v[20:23], v[24:25], off
	v_add_u32_e32 v29, s2, v29
	global_load_dwordx4 v[24:27], v[28:29], off
	global_load_dwordx4 v[118:121], v[32:33], off offset:2960
	global_load_dwordx4 v[114:117], v[44:45], off offset:2768
	v_mad_u64_u32 v[34:35], s[14:15], s12, v47, v[28:29]
	v_add_u32_e32 v35, s3, v35
	global_load_dwordx4 v[28:31], v[34:35], off
	global_load_dwordx4 v[110:113], v[32:33], off offset:3968
	v_mad_u64_u32 v[50:51], s[14:15], s12, v46, v[34:35]
	v_add_u32_e32 v51, s2, v51
	global_load_dwordx4 v[32:35], v[50:51], off
	global_load_dwordx4 v[106:109], v[44:45], off offset:3776
	v_mad_u64_u32 v[44:45], s[14:15], s12, v47, v[50:51]
	v_add_u32_e32 v45, s3, v45
	s_movk_i32 s13, 0x5000
	global_load_dwordx4 v[50:53], v[44:45], off
	global_load_dwordx4 v[102:105], v[38:39], off offset:880
	v_mad_u64_u32 v[44:45], s[14:15], s12, v46, v[44:45]
	v_add_co_u32_e32 v58, vcc, s13, v36
	v_add_u32_e32 v45, s2, v45
	s_nop 0
	v_addc_co_u32_e32 v59, vcc, 0, v37, vcc
	global_load_dwordx4 v[54:57], v[44:45], off
	global_load_dwordx4 v[98:101], v[58:59], off offset:688
	v_mad_u64_u32 v[44:45], s[14:15], s12, v47, v[44:45]
	v_add_u32_e32 v45, s3, v45
	global_load_dwordx4 v[62:65], v[44:45], off
	global_load_dwordx4 v[94:97], v[38:39], off offset:1888
	v_mad_u64_u32 v[38:39], s[14:15], s12, v46, v[44:45]
	v_add_u32_e32 v39, s2, v39
	;; [unrolled: 4-line block ×3, first 2 shown]
	global_load_dwordx4 v[78:81], v[38:39], off
	v_mad_u64_u32 v[38:39], s[12:13], s12, v46, v[38:39]
	v_add_u32_e32 v39, s2, v39
	global_load_dwordx4 v[44:47], v[38:39], off
	global_load_dwordx4 v[90:93], v[58:59], off offset:2704
	s_waitcnt vmcnt(29)
	v_mul_f64 v[36:37], v[6:7], v[128:129]
	v_fmac_f64_e32 v[36:37], v[4:5], v[126:127]
	v_mul_f64 v[4:5], v[4:5], v[128:129]
	v_fma_f64 v[38:39], v[6:7], v[126:127], -v[4:5]
	scratch_store_dwordx4 off, v[126:129], off offset:380 ; 16-byte Folded Spill
	ds_write_b128 v252, v[36:39] offset:16128
	scratch_store_dwordx4 off, v[82:85], off offset:44 ; 16-byte Folded Spill
	s_mov_b64 s[2:3], 0x13b
	v_lshl_add_u64 v[60:61], v[254:255], 0, s[2:3]
	s_mov_b64 s[2:3], 0x17a
	v_and_b32_e32 v43, 1, v254
	v_and_b32_e32 v61, 1, v216
	s_mov_b32 s13, 0xbfebb67a
	s_movk_i32 s14, 0xab
	s_waitcnt vmcnt(29)
	v_mul_f64 v[4:5], v[10:11], v[132:133]
	v_mul_f64 v[6:7], v[8:9], v[132:133]
	v_fmac_f64_e32 v[4:5], v[8:9], v[130:131]
	v_fma_f64 v[6:7], v[10:11], v[130:131], -v[6:7]
	ds_write_b128 v252, v[4:7] offset:5040
	scratch_store_dwordx4 off, v[130:133], off offset:364 ; 16-byte Folded Spill
	v_cmp_gt_u16_e32 vcc, 9, v254
	s_waitcnt vmcnt(28)
	v_mul_f64 v[4:5], v[14:15], v[68:69]
	v_mul_f64 v[6:7], v[12:13], v[68:69]
	v_fmac_f64_e32 v[4:5], v[12:13], v[66:67]
	v_fma_f64 v[6:7], v[14:15], v[66:67], -v[6:7]
	ds_write_b128 v252, v[4:7] offset:17136
	scratch_store_dwordx4 off, v[66:69], off offset:332 ; 16-byte Folded Spill
	s_waitcnt vmcnt(25)
	v_mul_f64 v[4:5], v[2:3], v[124:125]
	v_fmac_f64_e32 v[4:5], v[0:1], v[122:123]
	v_mul_f64 v[0:1], v[0:1], v[124:125]
	v_fma_f64 v[6:7], v[2:3], v[122:123], -v[0:1]
	s_waitcnt vmcnt(23)
	v_mul_f64 v[0:1], v[18:19], v[76:77]
	v_mul_f64 v[2:3], v[16:17], v[76:77]
	v_fmac_f64_e32 v[0:1], v[16:17], v[74:75]
	v_fma_f64 v[2:3], v[18:19], v[74:75], -v[2:3]
	ds_write_b128 v252, v[0:3] offset:18144
	s_waitcnt vmcnt(20)
	v_mul_f64 v[0:1], v[22:23], v[120:121]
	v_mul_f64 v[2:3], v[20:21], v[120:121]
	v_fmac_f64_e32 v[0:1], v[20:21], v[118:119]
	v_fma_f64 v[2:3], v[22:23], v[118:119], -v[2:3]
	ds_write_b128 v252, v[0:3] offset:7056
	;; [unrolled: 6-line block ×10, first 2 shown]
	s_waitcnt vmcnt(4)
	v_mul_f64 v[0:1], v[46:47], v[92:93]
	v_mul_f64 v[2:3], v[44:45], v[92:93]
	v_fmac_f64_e32 v[0:1], v[44:45], v[90:91]
	v_fma_f64 v[2:3], v[46:47], v[90:91], -v[2:3]
	scratch_store_dwordx4 off, v[122:125], off offset:300 ; 16-byte Folded Spill
	ds_write_b128 v252, v[4:7] offset:6048
	scratch_store_dwordx4 off, v[74:77], off offset:284 ; 16-byte Folded Spill
	scratch_store_dwordx4 off, v[118:121], off offset:268 ; 16-byte Folded Spill
	;; [unrolled: 1-line block ×10, first 2 shown]
	ds_write_b128 v252, v[0:3] offset:23184
	s_waitcnt lgkmcnt(0)
	; wave barrier
	s_waitcnt lgkmcnt(0)
	ds_read_b128 v[0:3], v252
	ds_read_b128 v[8:11], v252 offset:1008
	ds_read_b128 v[12:15], v252 offset:12096
	;; [unrolled: 1-line block ×23, first 2 shown]
	s_waitcnt lgkmcnt(14)
	v_add_f64 v[12:13], v[0:1], -v[12:13]
	v_add_f64 v[14:15], v[2:3], -v[14:15]
	v_fma_f64 v[0:1], v[0:1], 2.0, -v[12:13]
	v_fma_f64 v[2:3], v[2:3], 2.0, -v[14:15]
	v_add_f64 v[16:17], v[8:9], -v[16:17]
	v_add_f64 v[18:19], v[10:11], -v[18:19]
	v_fma_f64 v[118:119], v[8:9], 2.0, -v[16:17]
	v_fma_f64 v[120:121], v[10:11], 2.0, -v[18:19]
	v_add_f64 v[28:29], v[20:21], -v[28:29]
	v_add_f64 v[30:31], v[22:23], -v[30:31]
	s_waitcnt lgkmcnt(0)
	; wave barrier
	s_waitcnt lgkmcnt(0)
	ds_write_b128 v253, v[0:3]
	ds_write_b128 v253, v[12:15] offset:16
	v_lshlrev_b32_e32 v0, 5, v40
	v_fma_f64 v[20:21], v[20:21], 2.0, -v[28:29]
	v_fma_f64 v[22:23], v[22:23], 2.0, -v[30:31]
	v_add_f64 v[32:33], v[24:25], -v[32:33]
	v_add_f64 v[34:35], v[26:27], -v[34:35]
	ds_write_b128 v0, v[118:121]
	v_accvgpr_write_b32 a169, v0
	ds_write_b128 v0, v[16:19] offset:16
	v_lshlrev_b32_e32 v0, 5, v48
	v_fma_f64 v[24:25], v[24:25], 2.0, -v[32:33]
	v_fma_f64 v[26:27], v[26:27], 2.0, -v[34:35]
	v_add_f64 v[50:51], v[36:37], -v[50:51]
	v_add_f64 v[52:53], v[38:39], -v[52:53]
	ds_write_b128 v0, v[20:23]
	v_accvgpr_write_b32 a25, v0
	ds_write_b128 v0, v[28:31] offset:16
	v_lshlrev_b32_e32 v0, 5, v216
	v_fma_f64 v[36:37], v[36:37], 2.0, -v[50:51]
	v_fma_f64 v[38:39], v[38:39], 2.0, -v[52:53]
	v_add_f64 v[54:55], v[44:45], -v[54:55]
	v_add_f64 v[56:57], v[46:47], -v[56:57]
	ds_write_b128 v0, v[24:27]
	scratch_store_dword off, v0, off offset:580 ; 4-byte Folded Spill
	ds_write_b128 v0, v[32:35] offset:16
	v_lshlrev_b32_e32 v0, 5, v42
	v_lshl_add_u64 v[68:69], v[254:255], 0, s[2:3]
	s_mov_b64 s[2:3], 0x1b9
	v_fma_f64 v[44:45], v[44:45], 2.0, -v[54:55]
	v_fma_f64 v[46:47], v[46:47], 2.0, -v[56:57]
	v_add_f64 v[78:79], v[62:63], -v[78:79]
	v_add_f64 v[80:81], v[64:65], -v[80:81]
	ds_write_b128 v0, v[36:39]
	scratch_store_dword off, v0, off offset:572 ; 4-byte Folded Spill
	ds_write_b128 v0, v[50:53] offset:16
	v_lshlrev_b32_e32 v0, 5, v60
	v_lshl_add_u64 v[76:77], v[254:255], 0, s[2:3]
	v_fma_f64 v[62:63], v[62:63], 2.0, -v[78:79]
	v_fma_f64 v[64:65], v[64:65], 2.0, -v[80:81]
	v_add_f64 v[82:83], v[70:71], -v[82:83]
	v_add_f64 v[84:85], v[72:73], -v[84:85]
	ds_write_b128 v0, v[44:47]
	scratch_store_dword off, v0, off offset:568 ; 4-byte Folded Spill
	ds_write_b128 v0, v[54:57] offset:16
	v_lshlrev_b32_e32 v0, 5, v68
	v_fma_f64 v[70:71], v[70:71], 2.0, -v[82:83]
	v_fma_f64 v[72:73], v[72:73], 2.0, -v[84:85]
	v_add_f64 v[94:95], v[86:87], -v[94:95]
	v_add_f64 v[96:97], v[88:89], -v[96:97]
	v_lshlrev_b32_e32 v8, 1, v254
	ds_write_b128 v0, v[62:65]
	scratch_store_dword off, v0, off offset:564 ; 4-byte Folded Spill
	ds_write_b128 v0, v[78:81] offset:16
	v_lshlrev_b32_e32 v0, 5, v76
	v_add_u32_e32 v6, 0x237, v254
	v_fma_f64 v[86:87], v[86:87], 2.0, -v[94:95]
	v_fma_f64 v[88:89], v[88:89], 2.0, -v[96:97]
	ds_write_b128 v0, v[70:73]
	scratch_store_dword off, v0, off offset:544 ; 4-byte Folded Spill
	ds_write_b128 v0, v[82:85] offset:16
	v_add_u32_e32 v7, 0x3f0, v8
	v_lshlrev_b32_e32 v0, 4, v8
	v_add_u32_e32 v5, 0x276, v254
	v_add_f64 v[98:99], v[90:91], -v[98:99]
	v_add_f64 v[100:101], v[92:93], -v[100:101]
	v_lshlrev_b32_e32 v1, 4, v7
	ds_write_b128 v0, v[86:89] offset:16128
	v_lshlrev_b32_e32 v0, 5, v6
	v_add_u32_e32 v4, 0x2b5, v254
	v_fma_f64 v[90:91], v[90:91], 2.0, -v[98:99]
	v_fma_f64 v[92:93], v[92:93], 2.0, -v[100:101]
	v_add_f64 v[110:111], v[102:103], -v[110:111]
	v_add_f64 v[112:113], v[104:105], -v[112:113]
	ds_write_b128 v1, v[94:97] offset:16
	scratch_store_dword off, v0, off offset:536 ; 4-byte Folded Spill
	ds_write_b128 v0, v[98:101] offset:16
	v_lshlrev_b32_e32 v0, 5, v5
	v_fma_f64 v[102:103], v[102:103], 2.0, -v[110:111]
	v_fma_f64 v[104:105], v[104:105], 2.0, -v[112:113]
	v_add_f64 v[114:115], v[106:107], -v[114:115]
	v_add_f64 v[116:117], v[108:109], -v[116:117]
	ds_write_b128 v253, v[90:93] offset:18144
	scratch_store_dword off, v0, off offset:532 ; 4-byte Folded Spill
	ds_write_b128 v0, v[110:113] offset:16
	v_lshlrev_b32_e32 v0, 5, v4
	v_fma_f64 v[106:107], v[106:107], 2.0, -v[114:115]
	v_fma_f64 v[108:109], v[108:109], 2.0, -v[116:117]
	ds_write_b128 v253, v[102:105] offset:20160
	scratch_store_dword off, v0, off offset:512 ; 4-byte Folded Spill
	ds_write_b128 v0, v[114:117] offset:16
	v_lshlrev_b32_e32 v0, 4, v43
	scratch_store_dword off, v1, off offset:540 ; 4-byte Folded Spill
	ds_write_b128 v253, v[106:109] offset:22176
	s_waitcnt lgkmcnt(0)
	; wave barrier
	s_waitcnt lgkmcnt(0)
	v_and_b32_e32 v9, 1, v40
	global_load_dwordx4 v[0:3], v0, s[10:11]
	v_and_b32_e32 v49, 1, v4
	v_lshlrev_b32_e32 v10, 4, v9
	v_lshlrev_b32_e32 v11, 4, v49
	global_load_dwordx4 v[154:157], v11, s[10:11]
	global_load_dwordx2 v[110:111], v10, s[10:11]
	v_lshlrev_b32_e32 v10, 4, v61
	global_load_dwordx4 v[118:121], v10, s[10:11]
	v_and_b32_e32 v69, 1, v60
	v_lshlrev_b32_e32 v10, 4, v69
	global_load_dwordx4 v[126:129], v10, s[10:11]
	v_and_b32_e32 v77, 1, v76
	;; [unrolled: 3-line block ×3, first 2 shown]
	v_lshlrev_b32_e32 v10, 4, v150
	global_load_dwordx4 v[142:145], v10, s[10:11]
	global_load_dwordx2 v[148:149], v11, s[10:11] offset:8
	ds_read_b128 v[10:13], v252
	ds_read_b128 v[14:17], v252 offset:1008
	ds_read_b128 v[18:21], v252 offset:12096
	;; [unrolled: 1-line block ×19, first 2 shown]
	s_movk_i32 s2, 0x7c
	s_movk_i32 s3, 0x2fc
	s_waitcnt vmcnt(7) lgkmcnt(14)
	v_mul_f64 v[38:39], v[20:21], v[2:3]
	v_fma_f64 v[38:39], v[18:19], v[0:1], -v[38:39]
	v_mul_f64 v[58:59], v[18:19], v[2:3]
	s_waitcnt vmcnt(6)
	v_mul_f64 v[18:19], v[24:25], v[156:157]
	s_waitcnt vmcnt(5)
	v_fma_f64 v[66:67], v[22:23], v[110:111], -v[18:19]
	v_mul_f64 v[74:75], v[22:23], v[156:157]
	v_accvgpr_write_b32 a98, v110
	s_waitcnt lgkmcnt(13)
	v_mul_f64 v[18:19], v[36:37], v[2:3]
	v_accvgpr_write_b32 a99, v111
	v_fmac_f64_e32 v[74:75], v[24:25], v[110:111]
	v_fma_f64 v[110:111], v[34:35], v[0:1], -v[18:19]
	s_waitcnt vmcnt(4) lgkmcnt(12)
	v_mul_f64 v[18:19], v[46:47], v[120:121]
	v_fma_f64 v[114:115], v[44:45], v[118:119], -v[18:19]
	v_mul_f64 v[116:117], v[44:45], v[120:121]
	v_accvgpr_write_b32 a12, v118
	s_waitcnt lgkmcnt(9)
	v_mul_f64 v[18:19], v[64:65], v[2:3]
	v_accvgpr_write_b32 a13, v119
	v_accvgpr_write_b32 a14, v120
	;; [unrolled: 1-line block ×3, first 2 shown]
	v_fmac_f64_e32 v[116:117], v[46:47], v[118:119]
	v_fma_f64 v[118:119], v[62:63], v[0:1], -v[18:19]
	s_waitcnt vmcnt(3) lgkmcnt(8)
	v_mul_f64 v[18:19], v[72:73], v[128:129]
	v_fma_f64 v[122:123], v[70:71], v[126:127], -v[18:19]
	v_mul_f64 v[124:125], v[70:71], v[128:129]
	v_accvgpr_write_b32 a26, v126
	s_waitcnt lgkmcnt(5)
	v_mul_f64 v[18:19], v[88:89], v[2:3]
	v_accvgpr_write_b32 a27, v127
	v_accvgpr_write_b32 a28, v128
	;; [unrolled: 1-line block ×3, first 2 shown]
	v_fmac_f64_e32 v[124:125], v[72:73], v[126:127]
	v_fma_f64 v[126:127], v[86:87], v[0:1], -v[18:19]
	s_waitcnt vmcnt(2) lgkmcnt(4)
	v_mul_f64 v[18:19], v[92:93], v[136:137]
	v_fma_f64 v[130:131], v[90:91], v[134:135], -v[18:19]
	v_mul_f64 v[132:133], v[90:91], v[136:137]
	v_accvgpr_write_b32 a94, v134
	s_waitcnt lgkmcnt(3)
	v_mul_f64 v[18:19], v[96:97], v[2:3]
	v_mul_f64 v[112:113], v[34:35], v[2:3]
	v_accvgpr_write_b32 a95, v135
	v_accvgpr_write_b32 a96, v136
	;; [unrolled: 1-line block ×3, first 2 shown]
	v_fmac_f64_e32 v[132:133], v[92:93], v[134:135]
	v_fma_f64 v[134:135], v[94:95], v[0:1], -v[18:19]
	s_waitcnt vmcnt(1) lgkmcnt(2)
	v_mul_f64 v[18:19], v[100:101], v[144:145]
	v_mul_f64 v[140:141], v[98:99], v[144:145]
	v_add_f64 v[22:23], v[14:15], -v[66:67]
	v_add_f64 v[24:25], v[16:17], -v[74:75]
	v_fmac_f64_e32 v[112:113], v[36:37], v[0:1]
	v_fma_f64 v[138:139], v[98:99], v[142:143], -v[18:19]
	v_fmac_f64_e32 v[140:141], v[100:101], v[142:143]
	v_fma_f64 v[34:35], v[14:15], 2.0, -v[22:23]
	v_fma_f64 v[36:37], v[16:17], 2.0, -v[24:25]
	ds_read_b128 v[14:17], v252 offset:8064
	ds_read_b128 v[98:101], v252 offset:9072
	v_mul_f64 v[136:137], v[94:95], v[2:3]
	v_accvgpr_write_b32 a86, v142
	v_fmac_f64_e32 v[136:137], v[96:97], v[0:1]
	v_accvgpr_write_b32 a87, v143
	v_accvgpr_write_b32 a88, v144
	;; [unrolled: 1-line block ×3, first 2 shown]
	s_waitcnt lgkmcnt(3)
	v_mul_f64 v[18:19], v[104:105], v[2:3]
	v_mul_f64 v[144:145], v[102:103], v[2:3]
	s_waitcnt vmcnt(0)
	v_accvgpr_write_b32 a199, v149
	v_mul_f64 v[120:121], v[62:63], v[2:3]
	v_fma_f64 v[142:143], v[102:103], v[0:1], -v[18:19]
	v_fmac_f64_e32 v[144:145], v[104:105], v[0:1]
	s_waitcnt lgkmcnt(2)
	v_mul_f64 v[18:19], v[108:109], v[148:149]
	v_accvgpr_write_b32 a198, v148
	v_mul_f64 v[148:149], v[106:107], v[148:149]
	s_waitcnt lgkmcnt(1)
	v_add_f64 v[102:103], v[14:15], -v[134:135]
	v_add_f64 v[104:105], v[16:17], -v[136:137]
	v_fmac_f64_e32 v[120:121], v[64:65], v[0:1]
	v_fma_f64 v[146:147], v[106:107], v[154:155], -v[18:19]
	v_fmac_f64_e32 v[148:149], v[108:109], v[154:155]
	v_add_f64 v[62:63], v[30:31], -v[114:115]
	v_add_f64 v[64:65], v[32:33], -v[116:117]
	v_fma_f64 v[106:107], v[14:15], 2.0, -v[102:103]
	v_fma_f64 v[108:109], v[16:17], 2.0, -v[104:105]
	ds_read_b128 v[14:17], v252 offset:10080
	ds_read_b128 v[114:117], v252 offset:11088
	v_mul_f64 v[128:129], v[86:87], v[2:3]
	v_add_f64 v[70:71], v[50:51], -v[118:119]
	v_add_f64 v[72:73], v[52:53], -v[120:121]
	s_waitcnt lgkmcnt(1)
	v_add_f64 v[118:119], v[14:15], -v[142:143]
	v_add_f64 v[120:121], v[16:17], -v[144:145]
	v_fmac_f64_e32 v[58:59], v[20:21], v[0:1]
	v_fmac_f64_e32 v[128:129], v[88:89], v[0:1]
	v_add_f64 v[86:87], v[54:55], -v[122:123]
	v_add_f64 v[88:89], v[56:57], -v[124:125]
	v_fma_f64 v[122:123], v[14:15], 2.0, -v[118:119]
	v_fma_f64 v[124:125], v[16:17], 2.0, -v[120:121]
	v_and_or_b32 v14, v8, s2, v43
	s_movk_i32 s2, 0xfc
	v_lshlrev_b32_e32 v17, 1, v40
	v_add_f64 v[18:19], v[10:11], -v[38:39]
	v_add_f64 v[20:21], v[12:13], -v[58:59]
	v_lshlrev_b32_e32 v14, 4, v14
	v_and_or_b32 v9, v17, s2, v9
	v_fma_f64 v[10:11], v[10:11], 2.0, -v[18:19]
	v_fma_f64 v[12:13], v[12:13], 2.0, -v[20:21]
	s_waitcnt lgkmcnt(0)
	; wave barrier
	s_waitcnt lgkmcnt(0)
	ds_write_b128 v14, v[18:21] offset:32
	v_lshlrev_b32_e32 v9, 4, v9
	v_lshlrev_b32_e32 v18, 1, v48
	s_movk_i32 s2, 0x1fc
	v_lshlrev_b32_e32 v16, 1, v216
	v_add_f64 v[44:45], v[26:27], -v[110:111]
	v_add_f64 v[46:47], v[28:29], -v[112:113]
	ds_write_b128 v14, v[10:13]
	ds_write_b128 v9, v[34:37]
	scratch_store_dword off, v9, off offset:444 ; 4-byte Folded Spill
	ds_write_b128 v9, v[22:25] offset:32
	v_and_or_b32 v9, v18, s2, v43
	v_and_or_b32 v19, v16, s2, v61
	v_fma_f64 v[26:27], v[26:27], 2.0, -v[44:45]
	v_fma_f64 v[28:29], v[28:29], 2.0, -v[46:47]
	;; [unrolled: 1-line block ×4, first 2 shown]
	v_lshlrev_b32_e32 v9, 4, v9
	v_lshlrev_b32_e32 v15, 1, v42
	;; [unrolled: 1-line block ×3, first 2 shown]
	s_movk_i32 s2, 0x3fc
	ds_write_b128 v9, v[26:29]
	ds_write_b128 v9, v[44:47] offset:32
	ds_write_b128 v19, v[30:33]
	scratch_store_dword off, v19, off offset:448 ; 4-byte Folded Spill
	ds_write_b128 v19, v[62:65] offset:32
	v_and_or_b32 v19, v15, s2, v43
	v_fma_f64 v[50:51], v[50:51], 2.0, -v[70:71]
	v_fma_f64 v[52:53], v[52:53], 2.0, -v[72:73]
	scratch_store_dword off, v14, off offset:456 ; 4-byte Folded Spill
	v_lshlrev_b32_e32 v14, 1, v60
	v_lshlrev_b32_e32 v19, 4, v19
	ds_write_b128 v19, v[50:53]
	scratch_store_dword off, v19, off offset:264 ; 4-byte Folded Spill
	ds_write_b128 v19, v[70:73] offset:32
	v_and_or_b32 v19, v14, s3, v69
	v_fma_f64 v[54:55], v[54:55], 2.0, -v[86:87]
	v_fma_f64 v[56:57], v[56:57], 2.0, -v[88:89]
	v_lshlrev_b32_e32 v13, 1, v68
	v_lshlrev_b32_e32 v19, 4, v19
	v_add_f64 v[90:91], v[78:79], -v[126:127]
	v_add_f64 v[92:93], v[80:81], -v[128:129]
	ds_write_b128 v19, v[54:57]
	scratch_store_dword off, v19, off offset:208 ; 4-byte Folded Spill
	ds_write_b128 v19, v[86:89] offset:32
	v_and_or_b32 v19, v13, s2, v43
	v_fma_f64 v[78:79], v[78:79], 2.0, -v[90:91]
	v_fma_f64 v[80:81], v[80:81], 2.0, -v[92:93]
	v_lshlrev_b32_e32 v12, 1, v76
	v_lshlrev_b32_e32 v19, 4, v19
	v_add_f64 v[94:95], v[82:83], -v[130:131]
	v_add_f64 v[96:97], v[84:85], -v[132:133]
	ds_write_b128 v19, v[78:81]
	scratch_store_dword off, v19, off offset:200 ; 4-byte Folded Spill
	ds_write_b128 v19, v[90:93] offset:32
	v_and_or_b32 v19, v12, s2, v77
	v_fma_f64 v[82:83], v[82:83], 2.0, -v[94:95]
	v_fma_f64 v[84:85], v[84:85], 2.0, -v[96:97]
	v_lshlrev_b32_e32 v19, 4, v19
	s_movk_i32 s2, 0x7fc
	ds_write_b128 v19, v[82:85]
	scratch_store_dword off, v19, off offset:176 ; 4-byte Folded Spill
	ds_write_b128 v19, v[94:97] offset:32
	v_and_or_b32 v19, v7, s2, v43
	v_lshlrev_b32_e32 v11, 1, v6
	v_lshlrev_b32_e32 v19, 4, v19
	s_movk_i32 s2, 0x4fc
	v_add_f64 v[110:111], v[98:99], -v[138:139]
	v_add_f64 v[112:113], v[100:101], -v[140:141]
	ds_write_b128 v19, v[106:109]
	scratch_store_dword off, v19, off offset:172 ; 4-byte Folded Spill
	ds_write_b128 v19, v[102:105] offset:32
	v_and_or_b32 v19, v11, s2, v150
	v_fma_f64 v[98:99], v[98:99], 2.0, -v[110:111]
	v_fma_f64 v[100:101], v[100:101], 2.0, -v[112:113]
	v_lshlrev_b32_e32 v10, 1, v5
	v_lshlrev_b32_e32 v19, 4, v19
	s_movk_i32 s2, 0x5fc
	ds_write_b128 v19, v[98:101]
	scratch_store_dword off, v19, off offset:152 ; 4-byte Folded Spill
	ds_write_b128 v19, v[110:113] offset:32
	v_and_or_b32 v19, v10, s2, v43
	scratch_store_dword off, v9, off offset:260 ; 4-byte Folded Spill
	v_lshlrev_b32_e32 v9, 1, v4
	v_lshlrev_b32_e32 v19, 4, v19
	v_add_f64 v[126:127], v[114:115], -v[146:147]
	v_add_f64 v[128:129], v[116:117], -v[148:149]
	ds_write_b128 v19, v[122:125]
	scratch_store_dword off, v19, off offset:148 ; 4-byte Folded Spill
	ds_write_b128 v19, v[118:121] offset:32
	v_and_or_b32 v19, v9, s2, v49
	v_fma_f64 v[114:115], v[114:115], 2.0, -v[126:127]
	v_fma_f64 v[116:117], v[116:117], 2.0, -v[128:129]
	v_lshlrev_b32_e32 v19, 4, v19
	ds_write_b128 v19, v[114:117]
	scratch_store_dword off, v19, off offset:144 ; 4-byte Folded Spill
	ds_write_b128 v19, v[126:129] offset:32
	v_and_b32_e32 v19, 3, v254
	v_and_b32_e32 v6, 3, v6
	v_lshlrev_b32_e32 v20, 4, v19
	v_and_b32_e32 v43, 3, v40
	v_lshlrev_b32_e32 v49, 4, v6
	s_waitcnt lgkmcnt(0)
	; wave barrier
	s_waitcnt lgkmcnt(0)
	v_lshlrev_b32_e32 v21, 4, v43
	global_load_dwordx4 v[180:183], v20, s[10:11] offset:32
	global_load_dwordx2 v[58:59], v21, s[10:11] offset:32
	global_load_dwordx4 v[90:93], v49, s[10:11] offset:32
	v_and_b32_e32 v61, 3, v48
	v_and_b32_e32 v5, 3, v5
	;; [unrolled: 1-line block ×3, first 2 shown]
	v_lshlrev_b32_e32 v20, 4, v61
	v_lshlrev_b32_e32 v64, 4, v5
	v_and_b32_e32 v69, 3, v216
	v_lshlrev_b32_e32 v65, 4, v4
	global_load_dwordx4 v[86:89], v64, s[10:11] offset:32
	global_load_dwordx2 v[66:67], v20, s[10:11] offset:32
	global_load_dwordx4 v[70:73], v65, s[10:11] offset:32
	v_lshlrev_b32_e32 v20, 4, v69
	global_load_dwordx2 v[74:75], v20, s[10:11] offset:32
	ds_read_b128 v[20:23], v252 offset:12096
	ds_read_b128 v[24:27], v252 offset:13104
	;; [unrolled: 1-line block ×6, first 2 shown]
	global_load_dwordx2 v[102:103], v49, s[10:11] offset:40
	global_load_dwordx2 v[78:79], v64, s[10:11] offset:40
	v_and_b32_e32 v49, 3, v60
	v_and_b32_e32 v77, 3, v68
	;; [unrolled: 1-line block ×3, first 2 shown]
	s_movk_i32 s2, 0x78
	v_and_or_b32 v8, v8, s2, v19
	v_lshlrev_b32_e32 v8, 4, v8
	s_movk_i32 s2, 0xf8
	s_movk_i32 s3, 0x2f8
	v_accvgpr_write_b32 a54, v154
	v_accvgpr_write_b32 a55, v155
	;; [unrolled: 1-line block ×4, first 2 shown]
	s_waitcnt vmcnt(8) lgkmcnt(5)
	v_mul_f64 v[50:51], v[22:23], v[182:183]
	v_fma_f64 v[50:51], v[20:21], v[180:181], -v[50:51]
	v_mul_f64 v[52:53], v[20:21], v[182:183]
	s_waitcnt vmcnt(6) lgkmcnt(4)
	v_mul_f64 v[20:21], v[26:27], v[92:93]
	v_fma_f64 v[54:55], v[24:25], v[58:59], -v[20:21]
	v_mul_f64 v[56:57], v[24:25], v[92:93]
	v_accvgpr_write_b32 a105, v59
	v_accvgpr_write_b32 a104, v58
	v_fmac_f64_e32 v[56:57], v[26:27], v[58:59]
	s_waitcnt vmcnt(5) lgkmcnt(3)
	v_mul_f64 v[20:21], v[30:31], v[88:89]
	v_mul_f64 v[62:63], v[28:29], v[88:89]
	s_waitcnt vmcnt(4)
	v_fma_f64 v[58:59], v[28:29], v[66:67], -v[20:21]
	v_fmac_f64_e32 v[62:63], v[30:31], v[66:67]
	global_load_dwordx2 v[30:31], v65, s[10:11] offset:40
	s_waitcnt vmcnt(4) lgkmcnt(2)
	v_mul_f64 v[20:21], v[34:35], v[72:73]
	s_waitcnt vmcnt(3)
	v_fma_f64 v[64:65], v[32:33], v[74:75], -v[20:21]
	v_lshlrev_b32_e32 v20, 4, v49
	v_fmac_f64_e32 v[52:53], v[22:23], v[180:181]
	global_load_dwordx4 v[22:25], v20, s[10:11] offset:32
	v_accvgpr_write_b32 a119, v67
	v_accvgpr_write_b32 a118, v66
	v_mul_f64 v[66:67], v[32:33], v[72:73]
	v_accvgpr_write_b32 a155, v75
	s_waitcnt lgkmcnt(1)
	v_mul_f64 v[20:21], v[38:39], v[182:183]
	v_accvgpr_write_b32 a154, v74
	v_fmac_f64_e32 v[66:67], v[34:35], v[74:75]
	v_fma_f64 v[74:75], v[36:37], v[180:181], -v[20:21]
	v_lshlrev_b32_e32 v20, 4, v77
	global_load_dwordx4 v[32:35], v20, s[10:11] offset:32
	v_mul_f64 v[80:81], v[36:37], v[182:183]
	v_fmac_f64_e32 v[80:81], v[38:39], v[180:181]
	s_waitcnt vmcnt(4)
	v_accvgpr_write_b32 a231, v103
	v_accvgpr_write_b32 a189, v93
	;; [unrolled: 1-line block ×14, first 2 shown]
	s_waitcnt vmcnt(3)
	v_accvgpr_write_b32 a221, v79
	v_accvgpr_write_b32 a220, v78
	s_waitcnt vmcnt(2)
	v_accvgpr_write_b32 a205, v31
	v_accvgpr_write_b32 a204, v30
	s_waitcnt vmcnt(1) lgkmcnt(0)
	v_mul_f64 v[20:21], v[46:47], v[24:25]
	v_mul_f64 v[84:85], v[44:45], v[24:25]
	v_accvgpr_write_b32 a20, v22
	v_fma_f64 v[82:83], v[44:45], v[22:23], -v[20:21]
	v_accvgpr_write_b32 a21, v23
	v_accvgpr_write_b32 a22, v24
	;; [unrolled: 1-line block ×3, first 2 shown]
	v_fmac_f64_e32 v[84:85], v[46:47], v[22:23]
	ds_read_b128 v[20:23], v252 offset:18144
	ds_read_b128 v[24:27], v252 offset:19152
	s_waitcnt vmcnt(0)
	v_accvgpr_write_b32 a45, v35
	v_accvgpr_write_b32 a44, v34
	s_waitcnt lgkmcnt(1)
	v_mul_f64 v[28:29], v[22:23], v[34:35]
	v_fma_f64 v[94:95], v[20:21], v[32:33], -v[28:29]
	v_mul_f64 v[96:97], v[20:21], v[34:35]
	v_lshlrev_b32_e32 v20, 4, v134
	v_accvgpr_write_b32 a43, v33
	v_accvgpr_write_b32 a42, v32
	v_fmac_f64_e32 v[96:97], v[22:23], v[32:33]
	global_load_dwordx4 v[32:35], v20, s[10:11] offset:32
	s_waitcnt vmcnt(0) lgkmcnt(0)
	v_mul_f64 v[20:21], v[26:27], v[34:35]
	v_mul_f64 v[100:101], v[24:25], v[34:35]
	v_fma_f64 v[98:99], v[24:25], v[32:33], -v[20:21]
	v_fmac_f64_e32 v[100:101], v[26:27], v[32:33]
	ds_read_b128 v[20:23], v252 offset:20160
	ds_read_b128 v[24:27], v252 offset:21168
	v_accvgpr_write_b32 a53, v35
	v_accvgpr_write_b32 a52, v34
	;; [unrolled: 1-line block ×3, first 2 shown]
	s_waitcnt lgkmcnt(1)
	v_mul_f64 v[28:29], v[22:23], v[182:183]
	v_fma_f64 v[110:111], v[20:21], v[180:181], -v[28:29]
	v_mul_f64 v[112:113], v[20:21], v[182:183]
	s_waitcnt lgkmcnt(0)
	v_mul_f64 v[20:21], v[26:27], v[102:103]
	v_mul_f64 v[116:117], v[24:25], v[102:103]
	v_fmac_f64_e32 v[112:113], v[22:23], v[180:181]
	v_fma_f64 v[114:115], v[24:25], v[90:91], -v[20:21]
	v_fmac_f64_e32 v[116:117], v[26:27], v[90:91]
	ds_read_b128 v[20:23], v252 offset:22176
	ds_read_b128 v[24:27], v252 offset:23184
	v_accvgpr_write_b32 a50, v32
	s_waitcnt lgkmcnt(1)
	v_mul_f64 v[28:29], v[22:23], v[78:79]
	v_fma_f64 v[126:127], v[20:21], v[86:87], -v[28:29]
	v_mul_f64 v[128:129], v[20:21], v[78:79]
	s_waitcnt lgkmcnt(0)
	v_mul_f64 v[20:21], v[26:27], v[30:31]
	v_mul_f64 v[132:133], v[24:25], v[30:31]
	v_fmac_f64_e32 v[128:129], v[22:23], v[86:87]
	v_fma_f64 v[130:131], v[24:25], v[70:71], -v[20:21]
	v_fmac_f64_e32 v[132:133], v[26:27], v[70:71]
	ds_read_b128 v[20:23], v252
	ds_read_b128 v[24:27], v252 offset:1008
	ds_read_b128 v[36:39], v252 offset:2016
	;; [unrolled: 1-line block ×3, first 2 shown]
	s_waitcnt lgkmcnt(3)
	v_add_f64 v[28:29], v[20:21], -v[50:51]
	v_add_f64 v[30:31], v[22:23], -v[52:53]
	v_fma_f64 v[20:21], v[20:21], 2.0, -v[28:29]
	v_fma_f64 v[22:23], v[22:23], 2.0, -v[30:31]
	s_waitcnt lgkmcnt(2)
	v_add_f64 v[32:33], v[24:25], -v[54:55]
	v_add_f64 v[34:35], v[26:27], -v[56:57]
	s_waitcnt lgkmcnt(1)
	v_add_f64 v[52:53], v[38:39], -v[62:63]
	s_waitcnt lgkmcnt(0)
	v_add_f64 v[54:55], v[44:45], -v[64:65]
	ds_read_b128 v[62:65], v252 offset:4032
	ds_read_b128 v[70:73], v252 offset:5040
	;; [unrolled: 1-line block ×8, first 2 shown]
	s_waitcnt lgkmcnt(0)
	; wave barrier
	s_waitcnt lgkmcnt(0)
	ds_write_b128 v8, v[20:23]
	scratch_store_dword off, v8, off offset:140 ; 4-byte Folded Spill
	ds_write_b128 v8, v[28:31] offset:64
	v_and_or_b32 v8, v17, s2, v43
	v_fma_f64 v[24:25], v[24:25], 2.0, -v[32:33]
	v_fma_f64 v[26:27], v[26:27], 2.0, -v[34:35]
	v_lshlrev_b32_e32 v8, 4, v8
	s_movk_i32 s2, 0x1f8
	v_add_f64 v[50:51], v[36:37], -v[58:59]
	ds_write_b128 v8, v[24:27]
	scratch_store_dword off, v8, off offset:136 ; 4-byte Folded Spill
	ds_write_b128 v8, v[32:35] offset:64
	v_and_or_b32 v8, v18, s2, v61
	v_fma_f64 v[36:37], v[36:37], 2.0, -v[50:51]
	v_fma_f64 v[38:39], v[38:39], 2.0, -v[52:53]
	v_lshlrev_b32_e32 v8, 4, v8
	v_add_f64 v[56:57], v[46:47], -v[66:67]
	ds_write_b128 v8, v[36:39]
	scratch_store_dword off, v8, off offset:132 ; 4-byte Folded Spill
	ds_write_b128 v8, v[50:53] offset:64
	v_and_or_b32 v8, v16, s2, v69
	v_fma_f64 v[44:45], v[44:45], 2.0, -v[54:55]
	v_fma_f64 v[46:47], v[46:47], 2.0, -v[56:57]
	v_lshlrev_b32_e32 v8, 4, v8
	s_movk_i32 s2, 0x3f8
	v_add_f64 v[78:79], v[62:63], -v[74:75]
	v_add_f64 v[80:81], v[64:65], -v[80:81]
	ds_write_b128 v8, v[44:47]
	scratch_store_dword off, v8, off offset:128 ; 4-byte Folded Spill
	ds_write_b128 v8, v[54:57] offset:64
	v_and_or_b32 v8, v15, s2, v19
	v_fma_f64 v[62:63], v[62:63], 2.0, -v[78:79]
	v_fma_f64 v[64:65], v[64:65], 2.0, -v[80:81]
	v_lshlrev_b32_e32 v8, 4, v8
	v_add_f64 v[82:83], v[70:71], -v[82:83]
	v_add_f64 v[84:85], v[72:73], -v[84:85]
	ds_write_b128 v8, v[62:65]
	scratch_store_dword off, v8, off offset:124 ; 4-byte Folded Spill
	ds_write_b128 v8, v[78:81] offset:64
	v_and_or_b32 v8, v14, s3, v49
	v_fma_f64 v[70:71], v[70:71], 2.0, -v[82:83]
	v_fma_f64 v[72:73], v[72:73], 2.0, -v[84:85]
	v_lshlrev_b32_e32 v8, 4, v8
	;; [unrolled: 9-line block ×3, first 2 shown]
	ds_write_b128 v8, v[86:89]
	scratch_store_dword off, v8, off offset:116 ; 4-byte Folded Spill
	ds_write_b128 v8, v[94:97] offset:64
	v_and_or_b32 v8, v12, s2, v134
	s_movk_i32 s2, 0x7f8
	v_and_or_b32 v7, v7, s2, v19
	s_movk_i32 s2, 0x4f8
	;; [unrolled: 2-line block ×3, first 2 shown]
	v_add_f64 v[98:99], v[90:91], -v[98:99]
	v_add_f64 v[100:101], v[92:93], -v[100:101]
	;; [unrolled: 1-line block ×10, first 2 shown]
	v_and_or_b32 v5, v10, s2, v5
	v_and_or_b32 v4, v9, s2, v4
	v_fma_f64 v[90:91], v[90:91], 2.0, -v[98:99]
	v_fma_f64 v[92:93], v[92:93], 2.0, -v[100:101]
	;; [unrolled: 1-line block ×10, first 2 shown]
	v_lshlrev_b32_e32 v8, 4, v8
	v_lshlrev_b32_e32 v7, 4, v7
	;; [unrolled: 1-line block ×5, first 2 shown]
	v_and_b32_e32 v16, 7, v254
	ds_write_b128 v8, v[90:93]
	ds_write_b128 v8, v[98:101] offset:64
	ds_write_b128 v7, v[102:105]
	ds_write_b128 v7, v[110:113] offset:64
	;; [unrolled: 2-line block ×4, first 2 shown]
	ds_write_b128 v4, v[122:125]
	scratch_store_dword off, v4, off offset:40 ; 4-byte Folded Spill
	ds_write_b128 v4, v[130:133] offset:64
	v_lshlrev_b32_e32 v4, 5, v16
	scratch_store_dword off, v8, off offset:112 ; 4-byte Folded Spill
	scratch_store_dword off, v7, off offset:64 ; 4-byte Folded Spill
	;; [unrolled: 1-line block ×4, first 2 shown]
	s_waitcnt lgkmcnt(0)
	; wave barrier
	s_waitcnt lgkmcnt(0)
	global_load_dwordx4 v[26:29], v4, s[10:11] offset:96
	global_load_dwordx4 v[44:47], v4, s[10:11] offset:112
	ds_read_b128 v[4:7], v252 offset:8064
	ds_read_b128 v[8:11], v252 offset:9072
	;; [unrolled: 1-line block ×4, first 2 shown]
	v_and_b32_e32 v43, 7, v40
	v_and_b32_e32 v49, 7, v48
	;; [unrolled: 1-line block ×5, first 2 shown]
	v_lshrrev_b32_e32 v17, 3, v254
	v_mul_u32_u24_e32 v17, 24, v17
	v_or_b32_e32 v69, v17, v16
	v_lshlrev_b32_e32 v69, 4, v69
	s_mov_b32 s2, 0xe8584caa
	s_mov_b32 s3, 0x3febb67a
	;; [unrolled: 1-line block ×3, first 2 shown]
	s_waitcnt vmcnt(1) lgkmcnt(3)
	v_mul_f64 v[18:19], v[6:7], v[28:29]
	v_fma_f64 v[20:21], v[4:5], v[26:27], -v[18:19]
	v_mul_f64 v[24:25], v[4:5], v[28:29]
	v_accvgpr_write_b32 a109, v29
	s_waitcnt vmcnt(0) lgkmcnt(1)
	v_mul_f64 v[4:5], v[14:15], v[46:47]
	v_accvgpr_write_b32 a108, v28
	v_accvgpr_write_b32 a107, v27
	;; [unrolled: 1-line block ×3, first 2 shown]
	v_fma_f64 v[28:29], v[12:13], v[44:45], -v[4:5]
	v_mul_f64 v[32:33], v[12:13], v[46:47]
	v_accvgpr_write_b32 a103, v47
	v_lshlrev_b32_e32 v4, 5, v43
	v_accvgpr_write_b32 a102, v46
	v_accvgpr_write_b32 a101, v45
	;; [unrolled: 1-line block ×3, first 2 shown]
	v_fmac_f64_e32 v[32:33], v[14:15], v[44:45]
	global_load_dwordx4 v[12:15], v4, s[10:11] offset:96
	global_load_dwordx4 v[44:47], v4, s[10:11] offset:112
	v_fmac_f64_e32 v[24:25], v[6:7], v[26:27]
	v_add_f64 v[120:121], v[24:25], -v[32:33]
	s_waitcnt vmcnt(1)
	v_mul_f64 v[4:5], v[10:11], v[14:15]
	v_fma_f64 v[22:23], v[8:9], v[12:13], -v[4:5]
	s_waitcnt vmcnt(0) lgkmcnt(0)
	v_mul_f64 v[4:5], v[36:37], v[46:47]
	v_fma_f64 v[30:31], v[34:35], v[44:45], -v[4:5]
	v_mul_f64 v[34:35], v[34:35], v[46:47]
	v_accvgpr_write_b32 a117, v47
	v_lshlrev_b32_e32 v4, 5, v49
	v_accvgpr_write_b32 a116, v46
	v_accvgpr_write_b32 a115, v45
	;; [unrolled: 1-line block ×3, first 2 shown]
	v_fmac_f64_e32 v[34:35], v[36:37], v[44:45]
	global_load_dwordx4 v[44:47], v4, s[10:11] offset:96
	global_load_dwordx4 v[54:57], v4, s[10:11] offset:112
	v_mul_f64 v[26:27], v[8:9], v[14:15]
	v_fmac_f64_e32 v[26:27], v[10:11], v[12:13]
	ds_read_b128 v[4:7], v252 offset:10080
	ds_read_b128 v[8:11], v252 offset:11088
	v_accvgpr_write_b32 a113, v15
	v_accvgpr_write_b32 a112, v14
	;; [unrolled: 1-line block ×4, first 2 shown]
	s_waitcnt vmcnt(1) lgkmcnt(1)
	v_mul_f64 v[12:13], v[6:7], v[46:47]
	v_mul_f64 v[38:39], v[4:5], v[46:47]
	v_fma_f64 v[36:37], v[4:5], v[44:45], -v[12:13]
	v_fmac_f64_e32 v[38:39], v[6:7], v[44:45]
	ds_read_b128 v[4:7], v252 offset:18144
	ds_read_b128 v[12:15], v252 offset:19152
	s_waitcnt vmcnt(0)
	v_accvgpr_write_b32 a131, v57
	v_accvgpr_write_b32 a123, v47
	;; [unrolled: 1-line block ×3, first 2 shown]
	s_waitcnt lgkmcnt(1)
	v_mul_f64 v[18:19], v[6:7], v[56:57]
	v_mul_f64 v[52:53], v[4:5], v[56:57]
	v_accvgpr_write_b32 a129, v55
	v_accvgpr_write_b32 a128, v54
	v_and_b32_e32 v56, 7, v216
	v_accvgpr_write_b32 a122, v46
	v_accvgpr_write_b32 a121, v45
	;; [unrolled: 1-line block ×3, first 2 shown]
	v_fma_f64 v[46:47], v[4:5], v[54:55], -v[18:19]
	v_lshlrev_b32_e32 v4, 5, v56
	global_load_dwordx4 v[62:65], v4, s[10:11] offset:96
	global_load_dwordx4 v[70:73], v4, s[10:11] offset:112
	v_and_b32_e32 v57, 7, v42
	v_fmac_f64_e32 v[52:53], v[6:7], v[54:55]
	s_waitcnt vmcnt(1)
	v_mul_f64 v[4:5], v[10:11], v[64:65]
	v_fma_f64 v[44:45], v[8:9], v[62:63], -v[4:5]
	v_mul_f64 v[50:51], v[8:9], v[64:65]
	v_accvgpr_write_b32 a137, v65
	s_waitcnt vmcnt(0) lgkmcnt(0)
	v_mul_f64 v[4:5], v[14:15], v[72:73]
	v_accvgpr_write_b32 a136, v64
	v_accvgpr_write_b32 a135, v63
	;; [unrolled: 1-line block ×3, first 2 shown]
	v_fmac_f64_e32 v[50:51], v[10:11], v[62:63]
	v_fma_f64 v[54:55], v[12:13], v[70:71], -v[4:5]
	v_mul_f64 v[62:63], v[12:13], v[72:73]
	v_accvgpr_write_b32 a145, v73
	v_lshlrev_b32_e32 v4, 5, v57
	v_accvgpr_write_b32 a144, v72
	v_accvgpr_write_b32 a143, v71
	;; [unrolled: 1-line block ×3, first 2 shown]
	v_fmac_f64_e32 v[62:63], v[14:15], v[70:71]
	global_load_dwordx4 v[70:73], v4, s[10:11] offset:96
	global_load_dwordx4 v[80:83], v4, s[10:11] offset:112
	ds_read_b128 v[4:7], v252 offset:12096
	ds_read_b128 v[8:11], v252 offset:13104
	s_waitcnt vmcnt(1) lgkmcnt(1)
	v_mul_f64 v[12:13], v[6:7], v[72:73]
	v_mul_f64 v[66:67], v[4:5], v[72:73]
	v_fma_f64 v[64:65], v[4:5], v[70:71], -v[12:13]
	v_fmac_f64_e32 v[66:67], v[6:7], v[70:71]
	ds_read_b128 v[4:7], v252 offset:20160
	ds_read_b128 v[12:15], v252 offset:21168
	v_accvgpr_write_b32 a153, v73
	v_accvgpr_write_b32 a152, v72
	;; [unrolled: 1-line block ×3, first 2 shown]
	s_waitcnt vmcnt(0) lgkmcnt(1)
	v_mul_f64 v[18:19], v[6:7], v[82:83]
	v_accvgpr_write_b32 a150, v70
	v_fma_f64 v[72:73], v[4:5], v[80:81], -v[18:19]
	v_mul_f64 v[78:79], v[4:5], v[82:83]
	v_accvgpr_write_b32 a159, v83
	v_lshlrev_b32_e32 v4, 5, v58
	v_accvgpr_write_b32 a158, v82
	v_accvgpr_write_b32 a157, v81
	;; [unrolled: 1-line block ×3, first 2 shown]
	v_fmac_f64_e32 v[78:79], v[6:7], v[80:81]
	global_load_dwordx4 v[80:83], v4, s[10:11] offset:96
	global_load_dwordx4 v[84:87], v4, s[10:11] offset:112
	s_waitcnt vmcnt(1)
	v_mul_f64 v[4:5], v[10:11], v[82:83]
	v_fma_f64 v[70:71], v[8:9], v[80:81], -v[4:5]
	v_mul_f64 v[74:75], v[8:9], v[82:83]
	v_accvgpr_write_b32 a167, v83
	s_waitcnt vmcnt(0) lgkmcnt(0)
	v_mul_f64 v[4:5], v[14:15], v[86:87]
	v_accvgpr_write_b32 a166, v82
	v_accvgpr_write_b32 a165, v81
	;; [unrolled: 1-line block ×3, first 2 shown]
	v_fmac_f64_e32 v[74:75], v[10:11], v[80:81]
	v_fma_f64 v[80:81], v[12:13], v[84:85], -v[4:5]
	v_lshlrev_b32_e32 v4, 5, v59
	global_load_dwordx4 v[88:91], v4, s[10:11] offset:96
	global_load_dwordx4 v[96:99], v4, s[10:11] offset:112
	ds_read_b128 v[4:7], v252 offset:14112
	ds_read_b128 v[8:11], v252 offset:15120
	v_accvgpr_write_b32 a177, v87
	v_mul_f64 v[82:83], v[12:13], v[86:87]
	v_accvgpr_write_b32 a176, v86
	v_accvgpr_write_b32 a175, v85
	;; [unrolled: 1-line block ×3, first 2 shown]
	v_fmac_f64_e32 v[82:83], v[14:15], v[84:85]
	s_waitcnt vmcnt(1) lgkmcnt(1)
	v_mul_f64 v[12:13], v[6:7], v[90:91]
	v_mul_f64 v[86:87], v[4:5], v[90:91]
	v_fma_f64 v[84:85], v[4:5], v[88:89], -v[12:13]
	v_fmac_f64_e32 v[86:87], v[6:7], v[88:89]
	ds_read_b128 v[4:7], v252 offset:22176
	ds_read_b128 v[12:15], v252 offset:23184
	v_accvgpr_write_b32 a193, v91
	v_accvgpr_write_b32 a192, v90
	;; [unrolled: 1-line block ×3, first 2 shown]
	s_waitcnt vmcnt(0) lgkmcnt(1)
	v_mul_f64 v[18:19], v[6:7], v[98:99]
	v_accvgpr_write_b32 a190, v88
	v_fma_f64 v[90:91], v[4:5], v[96:97], -v[18:19]
	v_mul_f64 v[94:95], v[4:5], v[98:99]
	v_accvgpr_write_b32 a203, v99
	v_lshlrev_b32_e32 v4, 5, v61
	v_accvgpr_write_b32 a202, v98
	v_accvgpr_write_b32 a201, v97
	;; [unrolled: 1-line block ×3, first 2 shown]
	v_fmac_f64_e32 v[94:95], v[6:7], v[96:97]
	global_load_dwordx4 v[96:99], v4, s[10:11] offset:96
	global_load_dwordx4 v[100:103], v4, s[10:11] offset:112
	s_waitcnt vmcnt(1)
	v_mul_f64 v[4:5], v[10:11], v[98:99]
	v_fma_f64 v[88:89], v[8:9], v[96:97], -v[4:5]
	v_mul_f64 v[92:93], v[8:9], v[98:99]
	v_accvgpr_write_b32 a215, v99
	s_waitcnt vmcnt(0) lgkmcnt(0)
	v_mul_f64 v[4:5], v[14:15], v[102:103]
	v_accvgpr_write_b32 a214, v98
	v_accvgpr_write_b32 a213, v97
	v_accvgpr_write_b32 a212, v96
	v_fmac_f64_e32 v[92:93], v[10:11], v[96:97]
	v_fma_f64 v[96:97], v[12:13], v[100:101], -v[4:5]
	ds_read_b128 v[8:11], v252
	ds_read_b128 v[4:7], v252 offset:1008
	v_mul_f64 v[98:99], v[12:13], v[102:103]
	v_fmac_f64_e32 v[98:99], v[14:15], v[100:101]
	v_accvgpr_write_b32 a225, v103
	s_waitcnt lgkmcnt(1)
	v_add_f64 v[12:13], v[8:9], v[20:21]
	v_add_f64 v[14:15], v[10:11], v[24:25]
	;; [unrolled: 1-line block ×4, first 2 shown]
	v_accvgpr_write_b32 a224, v102
	v_accvgpr_write_b32 a223, v101
	;; [unrolled: 1-line block ×3, first 2 shown]
	ds_read_b128 v[100:103], v252 offset:2016
	ds_read_b128 v[104:107], v252 offset:3024
	;; [unrolled: 1-line block ×6, first 2 shown]
	s_waitcnt lgkmcnt(0)
	; wave barrier
	s_waitcnt lgkmcnt(0)
	ds_write_b128 v69, v[12:15]
	v_add_f64 v[12:13], v[20:21], v[28:29]
	v_fmac_f64_e32 v[8:9], -0.5, v[12:13]
	v_add_f64 v[12:13], v[24:25], v[32:33]
	v_fmac_f64_e32 v[10:11], -0.5, v[12:13]
	v_add_f64 v[20:21], v[20:21], -v[28:29]
	v_fma_f64 v[12:13], s[2:3], v[120:121], v[8:9]
	v_fma_f64 v[14:15], s[12:13], v[20:21], v[10:11]
	ds_write_b128 v69, v[12:15] offset:128
	v_lshrrev_b32_e32 v12, 3, v40
	v_fmac_f64_e32 v[8:9], s[12:13], v[120:121]
	v_fmac_f64_e32 v[10:11], s[2:3], v[20:21]
	v_mul_u32_u24_e32 v12, 24, v12
	ds_write_b128 v69, v[8:11] offset:256
	v_add_f64 v[8:9], v[4:5], v[22:23]
	v_add_f64 v[10:11], v[6:7], v[26:27]
	v_or_b32_e32 v12, v12, v43
	v_add_f64 v[8:9], v[8:9], v[30:31]
	v_add_f64 v[10:11], v[10:11], v[34:35]
	v_lshlrev_b32_e32 v20, 4, v12
	ds_write_b128 v20, v[8:11]
	v_add_f64 v[8:9], v[22:23], v[30:31]
	v_fmac_f64_e32 v[4:5], -0.5, v[8:9]
	v_add_f64 v[8:9], v[26:27], v[34:35]
	v_add_f64 v[12:13], v[26:27], -v[34:35]
	v_fmac_f64_e32 v[6:7], -0.5, v[8:9]
	v_add_f64 v[14:15], v[22:23], -v[30:31]
	v_fma_f64 v[8:9], s[2:3], v[12:13], v[4:5]
	v_fma_f64 v[10:11], s[12:13], v[14:15], v[6:7]
	ds_write_b128 v20, v[8:11] offset:128
	v_lshrrev_b32_e32 v8, 3, v48
	v_fmac_f64_e32 v[4:5], s[12:13], v[12:13]
	v_fmac_f64_e32 v[6:7], s[2:3], v[14:15]
	v_mul_u32_u24_e32 v8, 24, v8
	ds_write_b128 v20, v[4:7] offset:256
	v_add_f64 v[4:5], v[100:101], v[36:37]
	v_add_f64 v[6:7], v[102:103], v[38:39]
	v_or_b32_e32 v8, v8, v49
	v_add_f64 v[4:5], v[4:5], v[46:47]
	v_add_f64 v[6:7], v[6:7], v[52:53]
	v_lshlrev_b32_e32 v12, 4, v8
	ds_write_b128 v12, v[4:7]
	v_add_f64 v[4:5], v[36:37], v[46:47]
	v_fmac_f64_e32 v[100:101], -0.5, v[4:5]
	v_add_f64 v[8:9], v[38:39], -v[52:53]
	v_add_f64 v[4:5], v[38:39], v[52:53]
	v_fmac_f64_e32 v[102:103], -0.5, v[4:5]
	v_add_f64 v[10:11], v[36:37], -v[46:47]
	v_fma_f64 v[4:5], s[2:3], v[8:9], v[100:101]
	v_fmac_f64_e32 v[100:101], s[12:13], v[8:9]
	v_lshrrev_b32_e32 v8, 3, v216
	v_fma_f64 v[6:7], s[12:13], v[10:11], v[102:103]
	v_mul_u32_u24_e32 v8, 24, v8
	ds_write_b128 v12, v[4:7] offset:128
	v_fmac_f64_e32 v[102:103], s[2:3], v[10:11]
	v_add_f64 v[4:5], v[104:105], v[44:45]
	v_add_f64 v[6:7], v[106:107], v[50:51]
	v_or_b32_e32 v8, v8, v56
	scratch_store_dword off, v12, off offset:4 ; 4-byte Folded Spill
	ds_write_b128 v12, v[100:103] offset:256
	v_add_f64 v[4:5], v[4:5], v[54:55]
	v_add_f64 v[6:7], v[6:7], v[62:63]
	v_lshlrev_b32_e32 v12, 4, v8
	ds_write_b128 v12, v[4:7]
	v_add_f64 v[4:5], v[44:45], v[54:55]
	v_fmac_f64_e32 v[104:105], -0.5, v[4:5]
	v_add_f64 v[8:9], v[50:51], -v[62:63]
	v_add_f64 v[4:5], v[50:51], v[62:63]
	v_fmac_f64_e32 v[106:107], -0.5, v[4:5]
	v_add_f64 v[10:11], v[44:45], -v[54:55]
	v_fma_f64 v[4:5], s[2:3], v[8:9], v[104:105]
	v_fmac_f64_e32 v[104:105], s[12:13], v[8:9]
	v_lshrrev_b32_e32 v8, 3, v42
	v_fma_f64 v[6:7], s[12:13], v[10:11], v[106:107]
	v_mul_u32_u24_e32 v8, 24, v8
	ds_write_b128 v12, v[4:7] offset:128
	v_fmac_f64_e32 v[106:107], s[2:3], v[10:11]
	v_add_f64 v[4:5], v[108:109], v[64:65]
	v_add_f64 v[6:7], v[110:111], v[66:67]
	v_or_b32_e32 v8, v8, v57
	scratch_store_dword off, v12, off offset:8 ; 4-byte Folded Spill
	ds_write_b128 v12, v[104:107] offset:256
	;; [unrolled: 22-line block ×5, first 2 shown]
	v_add_f64 v[4:5], v[4:5], v[96:97]
	v_add_f64 v[6:7], v[6:7], v[98:99]
	v_lshlrev_b32_e32 v12, 4, v8
	ds_write_b128 v12, v[4:7]
	v_add_f64 v[4:5], v[88:89], v[96:97]
	v_fmac_f64_e32 v[16:17], -0.5, v[4:5]
	v_add_f64 v[4:5], v[92:93], v[98:99]
	v_add_f64 v[8:9], v[92:93], -v[98:99]
	v_fmac_f64_e32 v[18:19], -0.5, v[4:5]
	v_add_f64 v[10:11], v[88:89], -v[96:97]
	v_fma_f64 v[4:5], s[2:3], v[8:9], v[16:17]
	v_fma_f64 v[6:7], s[12:13], v[10:11], v[18:19]
	ds_write_b128 v12, v[4:7] offset:128
	v_mul_lo_u16_sdwa v4, v254, s14 dst_sel:DWORD dst_unused:UNUSED_PAD src0_sel:BYTE_0 src1_sel:DWORD
	v_lshrrev_b16_e32 v43, 12, v4
	v_mul_lo_u16_e32 v4, 24, v43
	v_sub_u16_e32 v4, v254, v4
	v_and_b32_e32 v49, 0xff, v4
	v_fmac_f64_e32 v[16:17], s[12:13], v[8:9]
	v_fmac_f64_e32 v[18:19], s[2:3], v[10:11]
	v_lshlrev_b32_e32 v4, 5, v49
	scratch_store_dword off, v69, off offset:88 ; 4-byte Folded Spill
	scratch_store_dword off, v20, off       ; 4-byte Folded Spill
	scratch_store_dword off, v12, off offset:92 ; 4-byte Folded Spill
	ds_write_b128 v12, v[16:19] offset:256
	s_waitcnt lgkmcnt(0)
	; wave barrier
	s_waitcnt lgkmcnt(0)
	global_load_dwordx4 v[20:23], v4, s[10:11] offset:352
	global_load_dwordx4 v[24:27], v4, s[10:11] offset:368
	ds_read_b128 v[4:7], v252 offset:8064
	ds_read_b128 v[8:11], v252 offset:9072
	v_mul_lo_u16_e32 v43, 0x48, v43
	v_and_b32_e32 v43, 0xf8, v43
	v_add_lshl_u32 v43, v43, v49, 4
	s_waitcnt vmcnt(1) lgkmcnt(1)
	v_mul_f64 v[12:13], v[6:7], v[22:23]
	v_mul_f64 v[18:19], v[4:5], v[22:23]
	v_fma_f64 v[16:17], v[4:5], v[20:21], -v[12:13]
	v_fmac_f64_e32 v[18:19], v[6:7], v[20:21]
	ds_read_b128 v[4:7], v252 offset:16128
	ds_read_b128 v[12:15], v252 offset:17136
	v_accvgpr_write_b32 a141, v23
	v_accvgpr_write_b32 a140, v22
	;; [unrolled: 1-line block ×4, first 2 shown]
	s_waitcnt vmcnt(0) lgkmcnt(1)
	v_mul_f64 v[20:21], v[6:7], v[26:27]
	v_fma_f64 v[20:21], v[4:5], v[24:25], -v[20:21]
	v_mul_f64 v[22:23], v[4:5], v[26:27]
	v_mul_lo_u16_sdwa v4, v40, s14 dst_sel:DWORD dst_unused:UNUSED_PAD src0_sel:BYTE_0 src1_sel:DWORD
	v_lshrrev_b16_e32 v56, 12, v4
	v_mul_lo_u16_e32 v4, 24, v56
	v_sub_u16_e32 v4, v40, v4
	v_and_b32_e32 v57, 0xff, v4
	v_lshlrev_b32_e32 v4, 5, v57
	global_load_dwordx4 v[28:31], v4, s[10:11] offset:352
	global_load_dwordx4 v[32:35], v4, s[10:11] offset:368
	v_accvgpr_write_b32 a149, v27
	v_accvgpr_write_b32 a148, v26
	;; [unrolled: 1-line block ×4, first 2 shown]
	v_fmac_f64_e32 v[22:23], v[6:7], v[24:25]
	v_add_f64 v[128:129], v[18:19], -v[22:23]
	s_waitcnt vmcnt(1)
	v_mul_f64 v[4:5], v[10:11], v[30:31]
	v_fma_f64 v[24:25], v[8:9], v[28:29], -v[4:5]
	v_mul_f64 v[26:27], v[8:9], v[30:31]
	v_accvgpr_write_b32 a163, v31
	s_waitcnt vmcnt(0) lgkmcnt(0)
	v_mul_f64 v[4:5], v[14:15], v[34:35]
	v_accvgpr_write_b32 a162, v30
	v_accvgpr_write_b32 a161, v29
	;; [unrolled: 1-line block ×3, first 2 shown]
	v_fmac_f64_e32 v[26:27], v[10:11], v[28:29]
	v_fma_f64 v[28:29], v[12:13], v[32:33], -v[4:5]
	v_mul_lo_u16_sdwa v4, v48, s14 dst_sel:DWORD dst_unused:UNUSED_PAD src0_sel:BYTE_0 src1_sel:DWORD
	v_lshrrev_b16_e32 v58, 12, v4
	v_mul_lo_u16_e32 v4, 24, v58
	v_sub_u16_e32 v4, v48, v4
	v_and_b32_e32 v59, 0xff, v4
	v_lshlrev_b32_e32 v4, 5, v59
	global_load_dwordx4 v[36:39], v4, s[10:11] offset:352
	global_load_dwordx4 v[44:47], v4, s[10:11] offset:368
	ds_read_b128 v[4:7], v252 offset:10080
	ds_read_b128 v[8:11], v252 offset:11088
	v_accvgpr_write_b32 a173, v35
	v_mul_f64 v[30:31], v[12:13], v[34:35]
	v_accvgpr_write_b32 a172, v34
	v_accvgpr_write_b32 a171, v33
	;; [unrolled: 1-line block ×3, first 2 shown]
	v_fmac_f64_e32 v[30:31], v[14:15], v[32:33]
	s_waitcnt vmcnt(1) lgkmcnt(1)
	v_mul_f64 v[12:13], v[6:7], v[38:39]
	v_mul_f64 v[34:35], v[4:5], v[38:39]
	v_fma_f64 v[32:33], v[4:5], v[36:37], -v[12:13]
	v_fmac_f64_e32 v[34:35], v[6:7], v[36:37]
	ds_read_b128 v[4:7], v252 offset:18144
	ds_read_b128 v[12:15], v252 offset:19152
	v_accvgpr_write_b32 a197, v39
	v_accvgpr_write_b32 a196, v38
	v_accvgpr_write_b32 a195, v37
	v_accvgpr_write_b32 a194, v36
	s_waitcnt vmcnt(0) lgkmcnt(1)
	v_mul_f64 v[36:37], v[6:7], v[46:47]
	v_fma_f64 v[36:37], v[4:5], v[44:45], -v[36:37]
	v_mul_f64 v[38:39], v[4:5], v[46:47]
	v_mul_lo_u16_sdwa v4, v216, s14 dst_sel:DWORD dst_unused:UNUSED_PAD src0_sel:BYTE_0 src1_sel:DWORD
	v_lshrrev_b16_e32 v61, 12, v4
	v_mul_lo_u16_e32 v4, 24, v61
	v_sub_u16_e32 v4, v216, v4
	v_and_b32_e32 v69, 0xff, v4
	v_lshlrev_b32_e32 v4, 5, v69
	global_load_dwordx4 v[50:53], v4, s[10:11] offset:352
	global_load_dwordx4 v[62:65], v4, s[10:11] offset:368
	v_accvgpr_write_b32 a209, v47
	v_accvgpr_write_b32 a208, v46
	;; [unrolled: 1-line block ×4, first 2 shown]
	v_fmac_f64_e32 v[38:39], v[6:7], v[44:45]
	s_mov_b32 s14, 0xaaab
	s_waitcnt vmcnt(1)
	v_mul_f64 v[4:5], v[10:11], v[52:53]
	v_fma_f64 v[44:45], v[8:9], v[50:51], -v[4:5]
	v_mul_f64 v[46:47], v[8:9], v[52:53]
	v_accvgpr_write_b32 a219, v53
	s_waitcnt vmcnt(0) lgkmcnt(0)
	v_mul_f64 v[4:5], v[14:15], v[64:65]
	v_accvgpr_write_b32 a218, v52
	v_accvgpr_write_b32 a217, v51
	;; [unrolled: 1-line block ×3, first 2 shown]
	v_fmac_f64_e32 v[46:47], v[10:11], v[50:51]
	v_fma_f64 v[50:51], v[12:13], v[62:63], -v[4:5]
	v_mul_u32_u24_sdwa v4, v42, s14 dst_sel:DWORD dst_unused:UNUSED_PAD src0_sel:WORD_0 src1_sel:DWORD
	v_lshrrev_b32_e32 v77, 20, v4
	v_mul_lo_u16_e32 v4, 24, v77
	v_sub_u16_e32 v96, v42, v4
	v_lshlrev_b16_e32 v4, 5, v96
	v_mov_b32_e32 v5, v153
	v_accvgpr_write_b32 a229, v65
	v_lshl_add_u64 v[4:5], s[10:11], 0, v[4:5]
	v_mul_f64 v[52:53], v[12:13], v[64:65]
	v_accvgpr_write_b32 a228, v64
	v_accvgpr_write_b32 a227, v63
	;; [unrolled: 1-line block ×3, first 2 shown]
	global_load_dwordx4 v[64:67], v[4:5], off offset:352
	global_load_dwordx4 v[70:73], v[4:5], off offset:368
	ds_read_b128 v[4:7], v252 offset:12096
	ds_read_b128 v[8:11], v252 offset:13104
	v_fmac_f64_e32 v[52:53], v[14:15], v[62:63]
	s_waitcnt vmcnt(1) lgkmcnt(1)
	v_mul_f64 v[12:13], v[6:7], v[66:67]
	v_mul_f64 v[62:63], v[4:5], v[66:67]
	v_fma_f64 v[54:55], v[4:5], v[64:65], -v[12:13]
	v_fmac_f64_e32 v[62:63], v[6:7], v[64:65]
	ds_read_b128 v[4:7], v252 offset:20160
	ds_read_b128 v[12:15], v252 offset:21168
	v_accvgpr_write_b32 a235, v67
	v_accvgpr_write_b32 a234, v66
	;; [unrolled: 1-line block ×4, first 2 shown]
	s_waitcnt vmcnt(0) lgkmcnt(1)
	v_mul_f64 v[64:65], v[6:7], v[72:73]
	v_fma_f64 v[64:65], v[4:5], v[70:71], -v[64:65]
	v_mul_f64 v[66:67], v[4:5], v[72:73]
	v_mul_u32_u24_sdwa v4, v60, s14 dst_sel:DWORD dst_unused:UNUSED_PAD src0_sel:WORD_0 src1_sel:DWORD
	v_lshrrev_b32_e32 v97, 20, v4
	v_mul_lo_u16_e32 v4, 24, v97
	v_sub_u16_e32 v98, v60, v4
	v_lshlrev_b16_e32 v4, 5, v98
	v_mov_b32_e32 v5, v153
	v_lshl_add_u64 v[4:5], s[10:11], 0, v[4:5]
	global_load_dwordx4 v[78:81], v[4:5], off offset:352
	global_load_dwordx4 v[82:85], v[4:5], off offset:368
	v_accvgpr_write_b32 a239, v73
	v_accvgpr_write_b32 a238, v72
	;; [unrolled: 1-line block ×4, first 2 shown]
	v_fmac_f64_e32 v[66:67], v[6:7], v[70:71]
	s_waitcnt vmcnt(1)
	v_mul_f64 v[4:5], v[10:11], v[80:81]
	v_fma_f64 v[70:71], v[8:9], v[78:79], -v[4:5]
	s_waitcnt vmcnt(0) lgkmcnt(0)
	v_mul_f64 v[4:5], v[14:15], v[84:85]
	v_fma_f64 v[74:75], v[12:13], v[82:83], -v[4:5]
	v_mul_u32_u24_sdwa v4, v68, s14 dst_sel:DWORD dst_unused:UNUSED_PAD src0_sel:WORD_0 src1_sel:DWORD
	v_lshrrev_b32_e32 v99, 20, v4
	v_mul_lo_u16_e32 v4, 24, v99
	v_sub_u16_e32 v100, v68, v4
	v_lshlrev_b16_e32 v4, 5, v100
	v_mov_b32_e32 v5, v153
	v_mul_f64 v[72:73], v[8:9], v[80:81]
	v_accvgpr_write_b32 a243, v81
	v_accvgpr_write_b32 a247, v85
	v_lshl_add_u64 v[4:5], s[10:11], 0, v[4:5]
	v_accvgpr_write_b32 a242, v80
	v_accvgpr_write_b32 a241, v79
	v_accvgpr_write_b32 a240, v78
	v_fmac_f64_e32 v[72:73], v[10:11], v[78:79]
	v_mul_f64 v[78:79], v[12:13], v[84:85]
	v_accvgpr_write_b32 a246, v84
	v_accvgpr_write_b32 a245, v83
	;; [unrolled: 1-line block ×3, first 2 shown]
	global_load_dwordx4 v[84:87], v[4:5], off offset:352
	global_load_dwordx4 v[88:91], v[4:5], off offset:368
	ds_read_b128 v[4:7], v252 offset:14112
	ds_read_b128 v[8:11], v252 offset:15120
	v_fmac_f64_e32 v[78:79], v[14:15], v[82:83]
	s_waitcnt vmcnt(1) lgkmcnt(1)
	v_mul_f64 v[12:13], v[6:7], v[86:87]
	v_mul_f64 v[82:83], v[4:5], v[86:87]
	v_fma_f64 v[80:81], v[4:5], v[84:85], -v[12:13]
	v_fmac_f64_e32 v[82:83], v[6:7], v[84:85]
	ds_read_b128 v[4:7], v252 offset:22176
	ds_read_b128 v[12:15], v252 offset:23184
	v_accvgpr_write_b32 a251, v87
	v_accvgpr_write_b32 a250, v86
	;; [unrolled: 1-line block ×4, first 2 shown]
	s_waitcnt vmcnt(0) lgkmcnt(1)
	v_mul_f64 v[84:85], v[6:7], v[90:91]
	v_fma_f64 v[84:85], v[4:5], v[88:89], -v[84:85]
	v_mul_f64 v[86:87], v[4:5], v[90:91]
	v_mul_u32_u24_sdwa v4, v76, s14 dst_sel:DWORD dst_unused:UNUSED_PAD src0_sel:WORD_0 src1_sel:DWORD
	v_lshrrev_b32_e32 v101, 20, v4
	v_mul_lo_u16_e32 v4, 24, v101
	v_sub_u16_e32 v102, v76, v4
	v_lshlrev_b16_e32 v4, 5, v102
	v_mov_b32_e32 v5, v153
	v_lshl_add_u64 v[4:5], s[10:11], 0, v[4:5]
	global_load_dwordx4 v[92:95], v[4:5], off offset:352
	global_load_dwordx4 v[104:107], v[4:5], off offset:368
	v_accvgpr_write_b32 a255, v91
	v_accvgpr_write_b32 a254, v90
	;; [unrolled: 1-line block ×4, first 2 shown]
	v_fmac_f64_e32 v[86:87], v[6:7], v[88:89]
	s_movk_i32 s14, 0x48
	s_waitcnt vmcnt(1)
	v_mul_f64 v[4:5], v[10:11], v[94:95]
	v_fma_f64 v[88:89], v[8:9], v[92:93], -v[4:5]
	v_mul_f64 v[90:91], v[8:9], v[94:95]
	v_accvgpr_write_b32 a127, v95
	s_waitcnt vmcnt(0) lgkmcnt(0)
	v_mul_f64 v[4:5], v[14:15], v[106:107]
	v_accvgpr_write_b32 a126, v94
	v_accvgpr_write_b32 a125, v93
	;; [unrolled: 1-line block ×3, first 2 shown]
	v_fmac_f64_e32 v[90:91], v[10:11], v[92:93]
	v_fma_f64 v[92:93], v[12:13], v[104:105], -v[4:5]
	ds_read_b128 v[8:11], v252
	ds_read_b128 v[4:7], v252 offset:1008
	v_mul_f64 v[94:95], v[12:13], v[106:107]
	v_fmac_f64_e32 v[94:95], v[14:15], v[104:105]
	v_accvgpr_write_b32 a46, v104
	s_waitcnt lgkmcnt(1)
	v_add_f64 v[12:13], v[8:9], v[16:17]
	v_add_f64 v[14:15], v[10:11], v[18:19]
	v_add_f64 v[12:13], v[12:13], v[20:21]
	v_add_f64 v[14:15], v[14:15], v[22:23]
	v_accvgpr_write_b32 a47, v105
	v_accvgpr_write_b32 a48, v106
	v_accvgpr_write_b32 a49, v107
	ds_read_b128 v[104:107], v252 offset:2016
	ds_read_b128 v[108:111], v252 offset:3024
	;; [unrolled: 1-line block ×6, first 2 shown]
	s_waitcnt lgkmcnt(0)
	; wave barrier
	s_waitcnt lgkmcnt(0)
	ds_write_b128 v43, v[12:15]
	v_add_f64 v[12:13], v[16:17], v[20:21]
	v_fmac_f64_e32 v[8:9], -0.5, v[12:13]
	v_add_f64 v[12:13], v[18:19], v[22:23]
	v_fmac_f64_e32 v[10:11], -0.5, v[12:13]
	v_add_f64 v[16:17], v[16:17], -v[20:21]
	v_fma_f64 v[12:13], s[2:3], v[128:129], v[8:9]
	v_fma_f64 v[14:15], s[12:13], v[16:17], v[10:11]
	v_fmac_f64_e32 v[8:9], s[12:13], v[128:129]
	v_fmac_f64_e32 v[10:11], s[2:3], v[16:17]
	ds_write_b128 v43, v[12:15] offset:384
	ds_write_b128 v43, v[8:11] offset:768
	v_add_f64 v[8:9], v[4:5], v[24:25]
	v_add_f64 v[10:11], v[6:7], v[26:27]
	v_mul_u32_u24_e32 v12, 0x48, v56
	v_add_f64 v[8:9], v[8:9], v[28:29]
	v_add_f64 v[10:11], v[10:11], v[30:31]
	v_add_lshl_u32 v16, v12, v57, 4
	ds_write_b128 v16, v[8:11]
	v_add_f64 v[8:9], v[24:25], v[28:29]
	v_fmac_f64_e32 v[4:5], -0.5, v[8:9]
	v_add_f64 v[8:9], v[26:27], v[30:31]
	v_add_f64 v[12:13], v[26:27], -v[30:31]
	v_fmac_f64_e32 v[6:7], -0.5, v[8:9]
	v_add_f64 v[14:15], v[24:25], -v[28:29]
	v_fma_f64 v[8:9], s[2:3], v[12:13], v[4:5]
	v_fma_f64 v[10:11], s[12:13], v[14:15], v[6:7]
	v_fmac_f64_e32 v[4:5], s[12:13], v[12:13]
	v_fmac_f64_e32 v[6:7], s[2:3], v[14:15]
	ds_write_b128 v16, v[8:11] offset:384
	ds_write_b128 v16, v[4:7] offset:768
	v_add_f64 v[4:5], v[104:105], v[32:33]
	v_add_f64 v[6:7], v[106:107], v[34:35]
	v_mul_u32_u24_e32 v8, 0x48, v58
	v_add_f64 v[4:5], v[4:5], v[36:37]
	v_add_f64 v[6:7], v[6:7], v[38:39]
	v_add_lshl_u32 v12, v8, v59, 4
	ds_write_b128 v12, v[4:7]
	v_add_f64 v[4:5], v[32:33], v[36:37]
	v_fmac_f64_e32 v[104:105], -0.5, v[4:5]
	v_add_f64 v[4:5], v[34:35], v[38:39]
	v_add_f64 v[8:9], v[34:35], -v[38:39]
	v_fmac_f64_e32 v[106:107], -0.5, v[4:5]
	v_add_f64 v[10:11], v[32:33], -v[36:37]
	v_fma_f64 v[4:5], s[2:3], v[8:9], v[104:105]
	v_fma_f64 v[6:7], s[12:13], v[10:11], v[106:107]
	ds_write_b128 v12, v[4:7] offset:384
	v_fmac_f64_e32 v[104:105], s[12:13], v[8:9]
	v_fmac_f64_e32 v[106:107], s[2:3], v[10:11]
	v_add_f64 v[4:5], v[108:109], v[44:45]
	v_add_f64 v[6:7], v[110:111], v[46:47]
	v_mul_u32_u24_e32 v8, 0x48, v61
	scratch_store_dword off, v12, off offset:452 ; 4-byte Folded Spill
	ds_write_b128 v12, v[104:107] offset:768
	v_add_f64 v[4:5], v[4:5], v[50:51]
	v_add_f64 v[6:7], v[6:7], v[52:53]
	v_add_lshl_u32 v12, v8, v69, 4
	ds_write_b128 v12, v[4:7]
	v_add_f64 v[4:5], v[44:45], v[50:51]
	v_fmac_f64_e32 v[108:109], -0.5, v[4:5]
	v_add_f64 v[4:5], v[46:47], v[52:53]
	v_add_f64 v[8:9], v[46:47], -v[52:53]
	v_fmac_f64_e32 v[110:111], -0.5, v[4:5]
	v_add_f64 v[10:11], v[44:45], -v[50:51]
	v_fma_f64 v[4:5], s[2:3], v[8:9], v[108:109]
	v_fma_f64 v[6:7], s[12:13], v[10:11], v[110:111]
	ds_write_b128 v12, v[4:7] offset:384
	v_fmac_f64_e32 v[108:109], s[12:13], v[8:9]
	v_fmac_f64_e32 v[110:111], s[2:3], v[10:11]
	v_add_f64 v[4:5], v[112:113], v[54:55]
	v_add_f64 v[6:7], v[114:115], v[62:63]
	v_mad_legacy_u16 v8, v77, s14, v96
	scratch_store_dword off, v12, off offset:460 ; 4-byte Folded Spill
	ds_write_b128 v12, v[108:111] offset:768
	v_add_f64 v[4:5], v[4:5], v[64:65]
	v_add_f64 v[6:7], v[6:7], v[66:67]
	v_lshlrev_b32_e32 v12, 4, v8
	ds_write_b128 v12, v[4:7]
	v_add_f64 v[4:5], v[54:55], v[64:65]
	v_fmac_f64_e32 v[112:113], -0.5, v[4:5]
	v_add_f64 v[4:5], v[62:63], v[66:67]
	v_add_f64 v[8:9], v[62:63], -v[66:67]
	v_fmac_f64_e32 v[114:115], -0.5, v[4:5]
	v_add_f64 v[10:11], v[54:55], -v[64:65]
	v_fma_f64 v[4:5], s[2:3], v[8:9], v[112:113]
	v_fma_f64 v[6:7], s[12:13], v[10:11], v[114:115]
	ds_write_b128 v12, v[4:7] offset:384
	v_fmac_f64_e32 v[112:113], s[12:13], v[8:9]
	v_fmac_f64_e32 v[114:115], s[2:3], v[10:11]
	v_add_f64 v[4:5], v[116:117], v[70:71]
	v_add_f64 v[6:7], v[118:119], v[72:73]
	v_mad_legacy_u16 v8, v97, s14, v98
	scratch_store_dword off, v12, off offset:464 ; 4-byte Folded Spill
	ds_write_b128 v12, v[112:115] offset:768
	v_add_f64 v[4:5], v[4:5], v[74:75]
	v_add_f64 v[6:7], v[6:7], v[78:79]
	v_lshlrev_b32_e32 v12, 4, v8
	;; [unrolled: 20-line block ×4, first 2 shown]
	ds_write_b128 v12, v[4:7]
	v_add_f64 v[4:5], v[88:89], v[92:93]
	v_fmac_f64_e32 v[124:125], -0.5, v[4:5]
	v_add_f64 v[4:5], v[90:91], v[94:95]
	v_add_f64 v[8:9], v[90:91], -v[94:95]
	v_fmac_f64_e32 v[126:127], -0.5, v[4:5]
	v_add_f64 v[10:11], v[88:89], -v[92:93]
	v_fma_f64 v[4:5], s[2:3], v[8:9], v[124:125]
	v_fma_f64 v[6:7], s[12:13], v[10:11], v[126:127]
	v_fmac_f64_e32 v[124:125], s[12:13], v[8:9]
	v_fmac_f64_e32 v[126:127], s[2:3], v[10:11]
	scratch_store_dword off, v43, off offset:180 ; 4-byte Folded Spill
	scratch_store_dword off, v16, off offset:204 ; 4-byte Folded Spill
	ds_write_b128 v12, v[4:7] offset:384
	scratch_store_dword off, v12, off offset:492 ; 4-byte Folded Spill
	ds_write_b128 v12, v[124:127] offset:768
	s_waitcnt lgkmcnt(0)
	; wave barrier
	s_waitcnt lgkmcnt(0)
	global_load_dwordx4 v[14:17], v253, s[10:11] offset:1120
	global_load_dwordx4 v[28:31], v253, s[10:11] offset:1136
	ds_read_b128 v[4:7], v252 offset:8064
	ds_read_b128 v[20:23], v252 offset:9072
	s_mov_b32 s14, 0xe38f
	s_waitcnt vmcnt(1) lgkmcnt(1)
	v_mul_f64 v[8:9], v[6:7], v[16:17]
	v_mul_f64 v[12:13], v[4:5], v[16:17]
	v_fma_f64 v[10:11], v[4:5], v[14:15], -v[8:9]
	v_fmac_f64_e32 v[12:13], v[6:7], v[14:15]
	ds_read_b128 v[4:7], v252 offset:16128
	ds_read_b128 v[24:27], v252 offset:17136
	v_accvgpr_write_b32 a61, v17
	v_accvgpr_write_b32 a60, v16
	;; [unrolled: 1-line block ×3, first 2 shown]
	s_waitcnt vmcnt(0) lgkmcnt(1)
	v_mul_f64 v[8:9], v[6:7], v[30:31]
	v_accvgpr_write_b32 a58, v14
	v_fma_f64 v[14:15], v[4:5], v[28:29], -v[8:9]
	v_mul_f64 v[16:17], v[4:5], v[30:31]
	v_lshl_add_u64 v[4:5], v[254:255], 0, -9
	v_cndmask_b32_e32 v9, v5, v41, vcc
	v_cndmask_b32_e32 v8, v4, v40, vcc
	v_lshlrev_b64 v[4:5], 5, v[8:9]
	v_accvgpr_write_b32 a65, v31
	v_lshl_add_u64 v[4:5], s[10:11], 0, v[4:5]
	v_accvgpr_write_b32 a64, v30
	v_accvgpr_write_b32 a63, v29
	;; [unrolled: 1-line block ×3, first 2 shown]
	v_fmac_f64_e32 v[16:17], v[6:7], v[28:29]
	global_load_dwordx4 v[28:31], v[4:5], off offset:1120
	global_load_dwordx4 v[32:35], v[4:5], off offset:1136
	v_cmp_lt_u16_e32 vcc, 8, v254
	s_waitcnt vmcnt(1)
	v_mul_f64 v[4:5], v[22:23], v[30:31]
	v_fma_f64 v[18:19], v[20:21], v[28:29], -v[4:5]
	v_mul_f64 v[20:21], v[20:21], v[30:31]
	s_waitcnt vmcnt(0) lgkmcnt(0)
	v_mul_f64 v[4:5], v[26:27], v[34:35]
	v_accvgpr_write_b32 a73, v35
	v_fmac_f64_e32 v[20:21], v[22:23], v[28:29]
	v_fma_f64 v[22:23], v[24:25], v[32:33], -v[4:5]
	v_mul_f64 v[24:25], v[24:25], v[34:35]
	v_accvgpr_write_b32 a72, v34
	v_accvgpr_write_b32 a71, v33
	;; [unrolled: 1-line block ×3, first 2 shown]
	v_mov_b32_e32 v34, 57
	v_mul_lo_u16_sdwa v4, v48, v34 dst_sel:DWORD dst_unused:UNUSED_PAD src0_sel:BYTE_0 src1_sel:DWORD
	v_lshrrev_b16_e32 v9, 12, v4
	v_mul_lo_u16_e32 v4, 0x48, v9
	v_sub_u16_e32 v4, v48, v4
	v_and_b32_e32 v56, 0xff, v4
	v_accvgpr_write_b32 a69, v31
	v_lshlrev_b32_e32 v4, 5, v56
	v_accvgpr_write_b32 a68, v30
	v_accvgpr_write_b32 a67, v29
	;; [unrolled: 1-line block ×3, first 2 shown]
	v_fmac_f64_e32 v[24:25], v[26:27], v[32:33]
	global_load_dwordx4 v[30:33], v4, s[10:11] offset:1120
	global_load_dwordx4 v[48:51], v4, s[10:11] offset:1136
	ds_read_b128 v[4:7], v252 offset:10080
	ds_read_b128 v[36:39], v252 offset:11088
	s_waitcnt vmcnt(1) lgkmcnt(1)
	v_mul_f64 v[26:27], v[6:7], v[32:33]
	v_mul_f64 v[28:29], v[4:5], v[32:33]
	v_fma_f64 v[26:27], v[4:5], v[30:31], -v[26:27]
	v_fmac_f64_e32 v[28:29], v[6:7], v[30:31]
	ds_read_b128 v[4:7], v252 offset:18144
	ds_read_b128 v[44:47], v252 offset:19152
	v_accvgpr_write_b32 a77, v33
	v_accvgpr_write_b32 a76, v32
	;; [unrolled: 1-line block ×4, first 2 shown]
	s_waitcnt vmcnt(0) lgkmcnt(1)
	v_mul_f64 v[30:31], v[6:7], v[50:51]
	v_fma_f64 v[30:31], v[4:5], v[48:49], -v[30:31]
	v_mul_f64 v[32:33], v[4:5], v[50:51]
	v_mul_lo_u16_sdwa v4, v216, v34 dst_sel:DWORD dst_unused:UNUSED_PAD src0_sel:BYTE_0 src1_sel:DWORD
	v_lshrrev_b16_e32 v57, 12, v4
	v_mul_lo_u16_e32 v4, 0x48, v57
	v_sub_u16_e32 v4, v216, v4
	v_and_b32_e32 v58, 0xff, v4
	v_accvgpr_write_b32 a81, v51
	v_lshlrev_b32_e32 v4, 5, v58
	v_accvgpr_write_b32 a80, v50
	v_accvgpr_write_b32 a79, v49
	;; [unrolled: 1-line block ×3, first 2 shown]
	v_fmac_f64_e32 v[32:33], v[6:7], v[48:49]
	global_load_dwordx4 v[48:51], v4, s[10:11] offset:1120
	global_load_dwordx4 v[52:55], v4, s[10:11] offset:1136
	s_waitcnt vmcnt(1)
	v_mul_f64 v[4:5], v[38:39], v[50:51]
	v_fma_f64 v[34:35], v[36:37], v[48:49], -v[4:5]
	v_mul_f64 v[36:37], v[36:37], v[50:51]
	s_waitcnt vmcnt(0) lgkmcnt(0)
	v_mul_f64 v[4:5], v[46:47], v[54:55]
	v_fmac_f64_e32 v[36:37], v[38:39], v[48:49]
	v_fma_f64 v[38:39], v[44:45], v[52:53], -v[4:5]
	v_mul_u32_u24_sdwa v4, v42, s14 dst_sel:DWORD dst_unused:UNUSED_PAD src0_sel:WORD_0 src1_sel:DWORD
	v_lshrrev_b32_e32 v59, 22, v4
	v_mul_lo_u16_e32 v4, 0x48, v59
	v_sub_u16_e32 v61, v42, v4
	v_lshlrev_b16_e32 v4, 5, v61
	v_mov_b32_e32 v5, v153
	v_accvgpr_write_b32 a85, v51
	v_mul_f64 v[40:41], v[44:45], v[54:55]
	v_lshl_add_u64 v[4:5], s[10:11], 0, v[4:5]
	v_accvgpr_write_b32 a84, v50
	v_accvgpr_write_b32 a83, v49
	;; [unrolled: 1-line block ×3, first 2 shown]
	v_fmac_f64_e32 v[40:41], v[46:47], v[52:53]
	global_load_dwordx4 v[46:49], v[4:5], off offset:1120
	global_load_dwordx4 v[62:65], v[4:5], off offset:1136
	v_accvgpr_write_b32 a8, v52
	v_accvgpr_write_b32 a9, v53
	;; [unrolled: 1-line block ×4, first 2 shown]
	ds_read_b128 v[4:7], v252 offset:12096
	ds_read_b128 v[52:55], v252 offset:13104
	s_waitcnt vmcnt(1) lgkmcnt(1)
	v_mul_f64 v[42:43], v[6:7], v[48:49]
	v_mul_f64 v[44:45], v[4:5], v[48:49]
	v_fma_f64 v[42:43], v[4:5], v[46:47], -v[42:43]
	v_fmac_f64_e32 v[44:45], v[6:7], v[46:47]
	ds_read_b128 v[4:7], v252 offset:20160
	ds_read_b128 v[70:73], v252 offset:21168
	v_accvgpr_write_b32 a34, v46
	v_accvgpr_write_b32 a35, v47
	;; [unrolled: 1-line block ×4, first 2 shown]
	s_waitcnt vmcnt(0) lgkmcnt(1)
	v_mul_f64 v[46:47], v[6:7], v[64:65]
	v_fma_f64 v[46:47], v[4:5], v[62:63], -v[46:47]
	v_mul_f64 v[48:49], v[4:5], v[64:65]
	v_accvgpr_write_b32 a93, v65
	v_mul_u32_u24_sdwa v4, v60, s14 dst_sel:DWORD dst_unused:UNUSED_PAD src0_sel:WORD_0 src1_sel:DWORD
	v_accvgpr_write_b32 a92, v64
	v_accvgpr_write_b32 a91, v63
	;; [unrolled: 1-line block ×3, first 2 shown]
	v_fmac_f64_e32 v[48:49], v[6:7], v[62:63]
	v_lshrrev_b32_e32 v62, 22, v4
	v_mul_lo_u16_e32 v4, 0x48, v62
	v_sub_u16_e32 v60, v60, v4
	v_lshlrev_b16_e32 v4, 5, v60
	v_mov_b32_e32 v5, v153
	v_lshl_add_u64 v[4:5], s[10:11], 0, v[4:5]
	global_load_dwordx4 v[78:81], v[4:5], off offset:1120
	global_load_dwordx4 v[64:67], v[4:5], off offset:1136
	s_waitcnt vmcnt(1)
	v_mul_f64 v[4:5], v[54:55], v[80:81]
	v_fma_f64 v[50:51], v[52:53], v[78:79], -v[4:5]
	v_mul_f64 v[52:53], v[52:53], v[80:81]
	s_waitcnt vmcnt(0) lgkmcnt(0)
	v_mul_f64 v[4:5], v[72:73], v[66:67]
	v_fmac_f64_e32 v[52:53], v[54:55], v[78:79]
	v_fma_f64 v[54:55], v[70:71], v[64:65], -v[4:5]
	v_mul_u32_u24_sdwa v4, v68, s14 dst_sel:DWORD dst_unused:UNUSED_PAD src0_sel:WORD_0 src1_sel:DWORD
	v_lshrrev_b32_e32 v63, 22, v4
	v_mul_lo_u16_e32 v4, 0x48, v63
	v_sub_u16_e32 v126, v68, v4
	v_lshlrev_b16_e32 v4, 5, v126
	v_mov_b32_e32 v5, v153
	v_mul_f64 v[108:109], v[70:71], v[66:67]
	v_lshl_add_u64 v[4:5], s[10:11], 0, v[4:5]
	v_fmac_f64_e32 v[108:109], v[72:73], v[64:65]
	global_load_dwordx4 v[68:71], v[4:5], off offset:1120
	global_load_dwordx4 v[72:75], v[4:5], off offset:1136
	ds_read_b128 v[4:7], v252 offset:14112
	ds_read_b128 v[84:87], v252 offset:15120
	v_accvgpr_write_b32 a16, v78
	v_accvgpr_write_b32 a17, v79
	;; [unrolled: 1-line block ×4, first 2 shown]
	s_waitcnt vmcnt(1) lgkmcnt(1)
	v_mul_f64 v[78:79], v[6:7], v[70:71]
	v_mul_f64 v[112:113], v[4:5], v[70:71]
	v_fma_f64 v[110:111], v[4:5], v[68:69], -v[78:79]
	v_fmac_f64_e32 v[112:113], v[6:7], v[68:69]
	ds_read_b128 v[4:7], v252 offset:22176
	ds_read_b128 v[88:91], v252 offset:23184
	s_waitcnt vmcnt(0) lgkmcnt(1)
	v_mul_f64 v[78:79], v[6:7], v[74:75]
	v_fma_f64 v[114:115], v[4:5], v[72:73], -v[78:79]
	v_mul_f64 v[116:117], v[4:5], v[74:75]
	v_mul_u32_u24_sdwa v4, v76, s14 dst_sel:DWORD dst_unused:UNUSED_PAD src0_sel:WORD_0 src1_sel:DWORD
	v_lshrrev_b32_e32 v4, 22, v4
	v_mul_lo_u16_e32 v4, 0x48, v4
	v_sub_u16_e32 v127, v76, v4
	v_lshlrev_b16_e32 v4, 5, v127
	v_mov_b32_e32 v5, v153
	v_lshl_add_u64 v[4:5], s[10:11], 0, v[4:5]
	global_load_dwordx4 v[76:79], v[4:5], off offset:1120
	global_load_dwordx4 v[80:83], v[4:5], off offset:1136
	v_fmac_f64_e32 v[116:117], v[6:7], v[72:73]
	s_movk_i32 s14, 0xd8
	v_lshlrev_b32_e32 v255, 4, v127
	s_waitcnt vmcnt(1)
	v_mul_f64 v[4:5], v[86:87], v[78:79]
	v_fma_f64 v[118:119], v[84:85], v[76:77], -v[4:5]
	s_waitcnt vmcnt(0) lgkmcnt(0)
	v_mul_f64 v[4:5], v[90:91], v[82:83]
	v_fma_f64 v[122:123], v[88:89], v[80:81], -v[4:5]
	ds_read_b128 v[4:7], v252
	ds_read_b128 v[104:107], v252 offset:1008
	v_mul_f64 v[120:121], v[84:85], v[78:79]
	v_mul_f64 v[124:125], v[88:89], v[82:83]
	v_fmac_f64_e32 v[120:121], v[86:87], v[76:77]
	s_waitcnt lgkmcnt(1)
	v_add_f64 v[84:85], v[4:5], v[10:11]
	v_add_f64 v[128:129], v[84:85], v[14:15]
	;; [unrolled: 1-line block ×4, first 2 shown]
	v_fmac_f64_e32 v[124:125], v[90:91], v[80:81]
	ds_read_b128 v[100:103], v252 offset:2016
	ds_read_b128 v[96:99], v252 offset:3024
	;; [unrolled: 1-line block ×6, first 2 shown]
	s_waitcnt lgkmcnt(0)
	; wave barrier
	s_waitcnt lgkmcnt(0)
	ds_write_b128 v252, v[128:131]
	v_add_f64 v[128:129], v[10:11], v[14:15]
	v_fmac_f64_e32 v[4:5], -0.5, v[128:129]
	v_add_f64 v[128:129], v[12:13], -v[16:17]
	v_add_f64 v[12:13], v[12:13], v[16:17]
	v_fmac_f64_e32 v[6:7], -0.5, v[12:13]
	v_add_f64 v[14:15], v[10:11], -v[14:15]
	v_fma_f64 v[10:11], s[2:3], v[128:129], v[4:5]
	v_fma_f64 v[12:13], s[12:13], v[14:15], v[6:7]
	ds_write_b128 v252, v[10:13] offset:1152
	v_fmac_f64_e32 v[4:5], s[12:13], v[128:129]
	v_fmac_f64_e32 v[6:7], s[2:3], v[14:15]
	v_mov_b32_e32 v10, 0xd8
	ds_write_b128 v252, v[4:7] offset:2304
	v_add_f64 v[4:5], v[104:105], v[18:19]
	v_add_f64 v[6:7], v[106:107], v[20:21]
	v_cndmask_b32_e32 v10, 0, v10, vcc
	v_add_f64 v[4:5], v[4:5], v[22:23]
	v_add_f64 v[6:7], v[6:7], v[24:25]
	v_add_lshl_u32 v8, v8, v10, 4
	ds_write_b128 v8, v[4:7]
	v_add_f64 v[4:5], v[18:19], v[22:23]
	v_fmac_f64_e32 v[104:105], -0.5, v[4:5]
	v_add_f64 v[4:5], v[20:21], v[24:25]
	v_add_f64 v[10:11], v[20:21], -v[24:25]
	v_fmac_f64_e32 v[106:107], -0.5, v[4:5]
	v_add_f64 v[12:13], v[18:19], -v[22:23]
	v_fma_f64 v[4:5], s[2:3], v[10:11], v[104:105]
	v_fma_f64 v[6:7], s[12:13], v[12:13], v[106:107]
	v_fmac_f64_e32 v[104:105], s[12:13], v[10:11]
	v_fmac_f64_e32 v[106:107], s[2:3], v[12:13]
	ds_write_b128 v8, v[4:7] offset:1152
	scratch_store_dword off, v8, off offset:576 ; 4-byte Folded Spill
	ds_write_b128 v8, v[104:107] offset:2304
	v_add_f64 v[4:5], v[100:101], v[26:27]
	v_add_f64 v[6:7], v[102:103], v[28:29]
	v_mul_u32_u24_e32 v8, 0xd8, v9
	v_add_f64 v[4:5], v[4:5], v[30:31]
	v_add_f64 v[6:7], v[6:7], v[32:33]
	v_add_lshl_u32 v12, v8, v56, 4
	ds_write_b128 v12, v[4:7]
	v_add_f64 v[4:5], v[26:27], v[30:31]
	v_fmac_f64_e32 v[100:101], -0.5, v[4:5]
	v_add_f64 v[4:5], v[28:29], v[32:33]
	v_add_f64 v[8:9], v[28:29], -v[32:33]
	v_fmac_f64_e32 v[102:103], -0.5, v[4:5]
	v_add_f64 v[10:11], v[26:27], -v[30:31]
	v_fma_f64 v[4:5], s[2:3], v[8:9], v[100:101]
	v_fma_f64 v[6:7], s[12:13], v[10:11], v[102:103]
	ds_write_b128 v12, v[4:7] offset:1152
	v_fmac_f64_e32 v[100:101], s[12:13], v[8:9]
	v_fmac_f64_e32 v[102:103], s[2:3], v[10:11]
	v_add_f64 v[4:5], v[96:97], v[34:35]
	v_add_f64 v[6:7], v[98:99], v[36:37]
	v_mul_u32_u24_e32 v8, 0xd8, v57
	v_accvgpr_write_b32 a133, v12
	ds_write_b128 v12, v[100:103] offset:2304
	v_add_f64 v[4:5], v[4:5], v[38:39]
	v_add_f64 v[6:7], v[6:7], v[40:41]
	v_add_lshl_u32 v12, v8, v58, 4
	ds_write_b128 v12, v[4:7]
	v_add_f64 v[4:5], v[34:35], v[38:39]
	v_fmac_f64_e32 v[96:97], -0.5, v[4:5]
	v_add_f64 v[4:5], v[36:37], v[40:41]
	v_add_f64 v[8:9], v[36:37], -v[40:41]
	v_fmac_f64_e32 v[98:99], -0.5, v[4:5]
	v_add_f64 v[10:11], v[34:35], -v[38:39]
	v_fma_f64 v[4:5], s[2:3], v[8:9], v[96:97]
	v_fma_f64 v[6:7], s[12:13], v[10:11], v[98:99]
	ds_write_b128 v12, v[4:7] offset:1152
	v_fmac_f64_e32 v[96:97], s[12:13], v[8:9]
	v_fmac_f64_e32 v[98:99], s[2:3], v[10:11]
	v_add_f64 v[4:5], v[92:93], v[42:43]
	v_add_f64 v[6:7], v[94:95], v[44:45]
	v_mad_legacy_u16 v8, v59, s14, v61
	v_accvgpr_write_b32 a132, v12
	ds_write_b128 v12, v[96:99] offset:2304
	v_add_f64 v[4:5], v[4:5], v[46:47]
	v_add_f64 v[6:7], v[6:7], v[48:49]
	v_lshlrev_b32_e32 v12, 4, v8
	ds_write_b128 v12, v[4:7]
	v_add_f64 v[4:5], v[42:43], v[46:47]
	v_fmac_f64_e32 v[92:93], -0.5, v[4:5]
	v_add_f64 v[4:5], v[44:45], v[48:49]
	v_add_f64 v[8:9], v[44:45], -v[48:49]
	v_fmac_f64_e32 v[94:95], -0.5, v[4:5]
	v_add_f64 v[10:11], v[42:43], -v[46:47]
	v_fma_f64 v[4:5], s[2:3], v[8:9], v[92:93]
	v_fma_f64 v[6:7], s[12:13], v[10:11], v[94:95]
	ds_write_b128 v12, v[4:7] offset:1152
	v_fmac_f64_e32 v[92:93], s[12:13], v[8:9]
	v_fmac_f64_e32 v[94:95], s[2:3], v[10:11]
	v_add_f64 v[4:5], v[88:89], v[50:51]
	v_add_f64 v[6:7], v[90:91], v[52:53]
	v_mad_legacy_u16 v8, v62, s14, v60
	v_accvgpr_write_b32 a210, v12
	ds_write_b128 v12, v[92:95] offset:2304
	v_add_f64 v[4:5], v[4:5], v[54:55]
	v_add_f64 v[6:7], v[6:7], v[108:109]
	v_lshlrev_b32_e32 v12, 4, v8
	;; [unrolled: 20-line block ×3, first 2 shown]
	ds_write_b128 v12, v[4:7]
	v_add_f64 v[4:5], v[110:111], v[114:115]
	v_fmac_f64_e32 v[84:85], -0.5, v[4:5]
	v_add_f64 v[4:5], v[112:113], v[116:117]
	v_add_f64 v[8:9], v[112:113], -v[116:117]
	v_fmac_f64_e32 v[86:87], -0.5, v[4:5]
	v_add_f64 v[10:11], v[110:111], -v[114:115]
	v_fma_f64 v[4:5], s[2:3], v[8:9], v[84:85]
	v_fma_f64 v[6:7], s[12:13], v[10:11], v[86:87]
	ds_write_b128 v12, v[4:7] offset:1152
	v_add_f64 v[4:5], v[168:169], v[118:119]
	v_add_f64 v[156:157], v[4:5], v[122:123]
	v_add_f64 v[4:5], v[170:171], v[120:121]
	v_add_f64 v[6:7], v[118:119], v[122:123]
	v_add_f64 v[158:159], v[4:5], v[124:125]
	v_add_f64 v[4:5], v[120:121], v[124:125]
	v_fmac_f64_e32 v[84:85], s[12:13], v[8:9]
	v_fmac_f64_e32 v[86:87], s[2:3], v[10:11]
	v_fmac_f64_e32 v[168:169], -0.5, v[6:7]
	v_add_f64 v[6:7], v[120:121], -v[124:125]
	v_fmac_f64_e32 v[170:171], -0.5, v[4:5]
	v_add_f64 v[4:5], v[118:119], -v[122:123]
	ds_write_b128 v12, v[84:87] offset:2304
	v_fma_f64 v[188:189], s[2:3], v[6:7], v[168:169]
	v_fmac_f64_e32 v[168:169], s[12:13], v[6:7]
	v_fma_f64 v[190:191], s[12:13], v[4:5], v[170:171]
	v_fmac_f64_e32 v[170:171], s[2:3], v[4:5]
	ds_write_b128 v255, v[156:159] offset:20736
	ds_write_b128 v255, v[188:191] offset:21888
	;; [unrolled: 1-line block ×3, first 2 shown]
	s_waitcnt lgkmcnt(0)
	; wave barrier
	s_waitcnt lgkmcnt(0)
	ds_read_b128 v[172:175], v252
	ds_read_b128 v[164:167], v252 offset:1008
	ds_read_b128 v[104:107], v252 offset:6912
	;; [unrolled: 1-line block ×20, first 2 shown]
	s_load_dwordx2 s[2:3], s[0:1], 0x38
	v_accvgpr_write_b32 a168, v12
	v_cmp_gt_u16_e32 vcc, 27, v254
	s_and_saveexec_b64 s[0:1], vcc
	s_cbranch_execz .LBB0_3
; %bb.2:
	ds_read_b128 v[156:159], v252 offset:3024
	ds_read_b128 v[188:191], v252 offset:6480
	;; [unrolled: 1-line block ×7, first 2 shown]
.LBB0_3:
	s_or_b64 exec, exec, s[0:1]
	s_movk_i32 s0, 0x60
	v_mov_b64_e32 v[4:5], s[10:11]
	v_mad_u64_u32 v[16:17], s[0:1], v254, s0, v[4:5]
	global_load_dwordx4 v[88:91], v[16:17], off offset:3472
	global_load_dwordx4 v[92:95], v[16:17], off offset:3456
	;; [unrolled: 1-line block ×4, first 2 shown]
	s_mov_b64 s[0:1], 0x17a0
	v_lshl_add_u64 v[26:27], v[16:17], 0, s[0:1]
	s_mov_b64 s[0:1], 0x2f40
	v_lshl_add_u64 v[34:35], v[16:17], 0, s[0:1]
	s_mov_b32 s14, 0xe976ee23
	s_mov_b32 s0, 0x36b3c0b5
	;; [unrolled: 1-line block ×18, first 2 shown]
	s_waitcnt vmcnt(3) lgkmcnt(0)
	v_mul_f64 v[18:19], v[98:99], v[90:91]
	v_mul_f64 v[220:221], v[96:97], v[90:91]
	s_waitcnt vmcnt(1)
	v_mul_f64 v[8:9], v[106:107], v[86:87]
	v_mul_f64 v[10:11], v[104:105], v[86:87]
	v_fma_f64 v[8:9], v[104:105], v[84:85], -v[8:9]
	v_fmac_f64_e32 v[10:11], v[106:107], v[84:85]
	v_fma_f64 v[218:219], v[96:97], v[88:89], -v[18:19]
	v_fmac_f64_e32 v[220:221], v[98:99], v[88:89]
	global_load_dwordx4 v[96:99], v[16:17], off offset:3504
	global_load_dwordx4 v[104:107], v[16:17], off offset:3488
	s_waitcnt vmcnt(2)
	v_mul_f64 v[4:5], v[126:127], v[102:103]
	v_mul_f64 v[6:7], v[124:125], v[102:103]
	;; [unrolled: 1-line block ×4, first 2 shown]
	v_fma_f64 v[4:5], v[124:125], v[100:101], -v[4:5]
	v_fmac_f64_e32 v[6:7], v[126:127], v[100:101]
	v_fma_f64 v[12:13], v[116:117], v[92:93], -v[12:13]
	v_fmac_f64_e32 v[14:15], v[118:119], v[92:93]
	s_waitcnt vmcnt(1)
	v_mul_f64 v[22:23], v[110:111], v[98:99]
	s_waitcnt vmcnt(0)
	v_mul_f64 v[18:19], v[114:115], v[106:107]
	v_mul_f64 v[20:21], v[112:113], v[106:107]
	;; [unrolled: 1-line block ×3, first 2 shown]
	v_fma_f64 v[18:19], v[112:113], v[104:105], -v[18:19]
	v_fmac_f64_e32 v[20:21], v[114:115], v[104:105]
	v_fma_f64 v[22:23], v[108:109], v[96:97], -v[22:23]
	v_fmac_f64_e32 v[24:25], v[110:111], v[96:97]
	global_load_dwordx4 v[108:111], v[26:27], off offset:3472
	global_load_dwordx4 v[112:115], v[26:27], off offset:3456
	;; [unrolled: 1-line block ×4, first 2 shown]
	s_waitcnt vmcnt(3)
	v_mul_f64 v[236:237], v[120:121], v[110:111]
	v_fmac_f64_e32 v[236:237], v[122:123], v[108:109]
	s_waitcnt vmcnt(1)
	v_mul_f64 v[228:229], v[128:129], v[118:119]
	s_waitcnt vmcnt(0)
	v_mul_f64 v[28:29], v[150:151], v[126:127]
	v_fma_f64 v[222:223], v[148:149], v[124:125], -v[28:29]
	v_mul_f64 v[28:29], v[130:131], v[118:119]
	v_fma_f64 v[226:227], v[128:129], v[116:117], -v[28:29]
	;; [unrolled: 2-line block ×3, first 2 shown]
	v_mul_f64 v[28:29], v[122:123], v[110:111]
	v_fmac_f64_e32 v[228:229], v[130:131], v[116:117]
	v_fma_f64 v[234:235], v[120:121], v[108:109], -v[28:29]
	global_load_dwordx4 v[120:123], v[26:27], off offset:3504
	global_load_dwordx4 v[128:131], v[26:27], off offset:3488
	v_mul_f64 v[224:225], v[148:149], v[126:127]
	v_mul_f64 v[232:233], v[140:141], v[114:115]
	v_fmac_f64_e32 v[224:225], v[150:151], v[124:125]
	v_fmac_f64_e32 v[232:233], v[142:143], v[112:113]
	s_waitcnt vmcnt(1)
	v_mul_f64 v[30:31], v[134:135], v[122:123]
	s_waitcnt vmcnt(0)
	v_mul_f64 v[26:27], v[138:139], v[130:131]
	v_mul_f64 v[28:29], v[136:137], v[130:131]
	;; [unrolled: 1-line block ×3, first 2 shown]
	v_fma_f64 v[26:27], v[136:137], v[128:129], -v[26:27]
	v_fmac_f64_e32 v[28:29], v[138:139], v[128:129]
	v_fma_f64 v[30:31], v[132:133], v[120:121], -v[30:31]
	v_fmac_f64_e32 v[32:33], v[134:135], v[120:121]
	global_load_dwordx4 v[132:135], v[34:35], off offset:3472
	global_load_dwordx4 v[136:139], v[34:35], off offset:3456
	;; [unrolled: 1-line block ×4, first 2 shown]
	s_waitcnt vmcnt(2)
	v_mul_f64 v[248:249], v[152:153], v[138:139]
	v_fmac_f64_e32 v[248:249], v[154:155], v[136:137]
	s_waitcnt vmcnt(0)
	v_mul_f64 v[16:17], v[214:215], v[150:151]
	v_fma_f64 v[238:239], v[212:213], v[148:149], -v[16:17]
	v_mul_f64 v[16:17], v[210:211], v[142:143]
	v_fma_f64 v[242:243], v[208:209], v[140:141], -v[16:17]
	v_mul_f64 v[16:17], v[154:155], v[138:139]
	v_fma_f64 v[246:247], v[152:153], v[136:137], -v[16:17]
	v_mul_f64 v[16:17], v[146:147], v[134:135]
	v_fma_f64 v[250:251], v[144:145], v[132:133], -v[16:17]
	v_mul_f64 v[16:17], v[144:145], v[134:135]
	v_fmac_f64_e32 v[16:17], v[146:147], v[132:133]
	global_load_dwordx4 v[144:147], v[34:35], off offset:3504
	global_load_dwordx4 v[152:155], v[34:35], off offset:3488
	v_mul_f64 v[240:241], v[212:213], v[150:151]
	v_mul_f64 v[244:245], v[208:209], v[142:143]
	v_fmac_f64_e32 v[240:241], v[214:215], v[148:149]
	v_fmac_f64_e32 v[244:245], v[210:211], v[140:141]
	s_waitcnt vmcnt(1)
	v_mul_f64 v[54:55], v[200:201], v[146:147]
	s_waitcnt vmcnt(0)
	v_mul_f64 v[34:35], v[206:207], v[154:155]
	v_fma_f64 v[48:49], v[204:205], v[152:153], -v[34:35]
	v_mul_f64 v[34:35], v[202:203], v[146:147]
	v_fma_f64 v[52:53], v[200:201], v[144:145], -v[34:35]
	v_subrev_u32_e32 v34, 27, v254
	v_cndmask_b32_e32 v34, v34, v216, vcc
	v_mul_hi_i32_i24_e32 v35, 0x60, v34
	v_mul_i32_i24_e32 v34, 0x60, v34
	v_lshl_add_u64 v[56:57], s[10:11], 0, v[34:35]
	global_load_dwordx4 v[58:61], v[56:57], off offset:3472
	global_load_dwordx4 v[44:47], v[56:57], off offset:3456
	;; [unrolled: 1-line block ×4, first 2 shown]
	s_mov_b32 s10, 0x37e14327
	s_mov_b32 s11, 0x3fe948f6
	v_fmac_f64_e32 v[54:55], v[202:203], v[144:145]
	v_mul_f64 v[50:51], v[204:205], v[154:155]
	v_fmac_f64_e32 v[50:51], v[206:207], v[152:153]
	s_waitcnt vmcnt(3)
	scratch_store_dwordx4 off, v[58:61], off offset:632 ; 16-byte Folded Spill
	s_waitcnt vmcnt(3)
	scratch_store_dwordx4 off, v[44:47], off offset:600 ; 16-byte Folded Spill
	;; [unrolled: 2-line block ×3, first 2 shown]
	s_waitcnt vmcnt(3)
	v_mul_f64 v[34:35], v[190:191], v[38:39]
	v_mul_f64 v[216:217], v[188:189], v[38:39]
	v_fma_f64 v[34:35], v[188:189], v[36:37], -v[34:35]
	scratch_store_dwordx4 off, v[36:39], off offset:616 ; 16-byte Folded Spill
	v_fmac_f64_e32 v[216:217], v[190:191], v[36:37]
	s_nop 0
	v_mul_f64 v[36:37], v[170:171], v[42:43]
	v_mul_f64 v[38:39], v[168:169], v[42:43]
	v_fma_f64 v[36:37], v[168:169], v[40:41], -v[36:37]
	v_fmac_f64_e32 v[38:39], v[170:171], v[40:41]
	v_mul_f64 v[40:41], v[194:195], v[46:47]
	v_mul_f64 v[42:43], v[192:193], v[46:47]
	v_fma_f64 v[40:41], v[192:193], v[44:45], -v[40:41]
	v_fmac_f64_e32 v[42:43], v[194:195], v[44:45]
	v_mul_f64 v[44:45], v[198:199], v[60:61]
	v_mul_f64 v[46:47], v[196:197], v[60:61]
	global_load_dwordx4 v[168:171], v[56:57], off offset:3504
	global_load_dwordx4 v[60:63], v[56:57], off offset:3488
	v_fma_f64 v[44:45], v[196:197], v[58:59], -v[44:45]
	v_fmac_f64_e32 v[46:47], v[198:199], v[58:59]
	s_waitcnt vmcnt(1)
	scratch_store_dwordx4 off, v[168:171], off offset:664 ; 16-byte Folded Spill
	s_waitcnt vmcnt(1)
	v_mul_f64 v[56:57], v[178:179], v[62:63]
	v_mul_f64 v[58:59], v[176:177], v[62:63]
	v_fma_f64 v[56:57], v[176:177], v[60:61], -v[56:57]
	scratch_store_dwordx4 off, v[60:63], off offset:648 ; 16-byte Folded Spill
	v_fmac_f64_e32 v[58:59], v[178:179], v[60:61]
	s_nop 0
	v_mul_f64 v[60:61], v[186:187], v[170:171]
	v_mul_f64 v[62:63], v[184:185], v[170:171]
	v_fma_f64 v[60:61], v[184:185], v[168:169], -v[60:61]
	v_fmac_f64_e32 v[62:63], v[186:187], v[168:169]
	v_add_f64 v[168:169], v[4:5], v[22:23]
	v_add_f64 v[4:5], v[4:5], -v[22:23]
	v_add_f64 v[22:23], v[8:9], v[18:19]
	v_add_f64 v[170:171], v[6:7], v[24:25]
	v_add_f64 v[6:7], v[6:7], -v[24:25]
	v_add_f64 v[24:25], v[10:11], v[20:21]
	v_add_f64 v[8:9], v[8:9], -v[18:19]
	;; [unrolled: 2-line block ×6, first 2 shown]
	v_add_f64 v[188:189], v[168:169], -v[18:19]
	v_add_f64 v[22:23], v[18:19], -v[22:23]
	v_add_f64 v[168:169], v[12:13], v[8:9]
	v_add_f64 v[18:19], v[18:19], v[176:177]
	v_add_f64 v[186:187], v[24:25], -v[170:171]
	v_add_f64 v[190:191], v[170:171], -v[20:21]
	;; [unrolled: 1-line block ×3, first 2 shown]
	v_add_f64 v[170:171], v[14:15], v[10:11]
	v_add_f64 v[192:193], v[12:13], -v[8:9]
	v_add_f64 v[12:13], v[4:5], -v[12:13]
	;; [unrolled: 1-line block ×3, first 2 shown]
	v_add_f64 v[20:21], v[20:21], v[178:179]
	v_add_f64 v[4:5], v[168:169], v[4:5]
	;; [unrolled: 1-line block ×3, first 2 shown]
	v_add_f64 v[194:195], v[14:15], -v[10:11]
	v_add_f64 v[14:15], v[6:7], -v[14:15]
	v_add_f64 v[10:11], v[10:11], -v[6:7]
	v_add_f64 v[6:7], v[170:171], v[6:7]
	v_add_f64 v[170:171], v[174:175], v[20:21]
	v_mul_f64 v[198:199], v[192:193], s[14:15]
	v_mov_b64_e32 v[192:193], v[168:169]
	v_mul_f64 v[172:173], v[188:189], s[10:11]
	v_mul_f64 v[174:175], v[190:191], s[10:11]
	;; [unrolled: 1-line block ×5, first 2 shown]
	v_fmac_f64_e32 v[192:193], s[16:17], v[18:19]
	v_mov_b64_e32 v[18:19], v[170:171]
	v_mul_f64 v[196:197], v[194:195], s[14:15]
	v_mul_f64 v[190:191], v[10:11], s[12:13]
	v_fmac_f64_e32 v[18:19], s[16:17], v[20:21]
	v_fma_f64 v[20:21], v[184:185], s[18:19], -v[176:177]
	v_fma_f64 v[176:177], v[186:187], s[18:19], -v[178:179]
	;; [unrolled: 1-line block ×3, first 2 shown]
	v_fmac_f64_e32 v[172:173], s[0:1], v[22:23]
	v_fma_f64 v[22:23], v[186:187], s[20:21], -v[174:175]
	v_fmac_f64_e32 v[174:175], s[0:1], v[24:25]
	v_fma_f64 v[8:9], v[8:9], s[12:13], -v[198:199]
	;; [unrolled: 2-line block ×3, first 2 shown]
	v_fma_f64 v[10:11], v[10:11], s[12:13], -v[196:197]
	v_fmac_f64_e32 v[196:197], s[22:23], v[14:15]
	v_fma_f64 v[14:15], v[14:15], s[26:27], -v[190:191]
	v_add_f64 v[200:201], v[174:175], v[18:19]
	v_add_f64 v[190:191], v[176:177], v[18:19]
	;; [unrolled: 1-line block ×3, first 2 shown]
	v_fmac_f64_e32 v[12:13], s[24:25], v[4:5]
	v_add_f64 v[24:25], v[172:173], v[192:193]
	v_add_f64 v[20:21], v[20:21], v[192:193]
	;; [unrolled: 1-line block ×3, first 2 shown]
	v_fmac_f64_e32 v[198:199], s[24:25], v[4:5]
	v_fmac_f64_e32 v[8:9], s[24:25], v[4:5]
	;; [unrolled: 1-line block ×3, first 2 shown]
	v_add_f64 v[178:179], v[18:19], -v[12:13]
	v_add_f64 v[194:195], v[12:13], v[18:19]
	v_add_f64 v[4:5], v[222:223], v[30:31]
	;; [unrolled: 1-line block ×3, first 2 shown]
	v_fmac_f64_e32 v[196:197], s[24:25], v[6:7]
	v_fmac_f64_e32 v[10:11], s[24:25], v[6:7]
	v_add_f64 v[176:177], v[14:15], v[192:193]
	v_add_f64 v[186:187], v[8:9], v[190:191]
	v_add_f64 v[190:191], v[190:191], -v[8:9]
	v_add_f64 v[192:193], v[192:193], -v[14:15]
	v_add_f64 v[6:7], v[224:225], v[32:33]
	v_add_f64 v[8:9], v[222:223], -v[30:31]
	v_add_f64 v[14:15], v[228:229], v[28:29]
	v_add_f64 v[22:23], v[230:231], v[234:235]
	;; [unrolled: 1-line block ×4, first 2 shown]
	v_add_f64 v[174:175], v[200:201], -v[198:199]
	v_add_f64 v[184:185], v[20:21], -v[10:11]
	v_add_f64 v[188:189], v[10:11], v[20:21]
	v_add_f64 v[196:197], v[24:25], -v[196:197]
	v_add_f64 v[198:199], v[198:199], v[200:201]
	v_add_f64 v[10:11], v[224:225], -v[32:33]
	v_add_f64 v[18:19], v[226:227], -v[26:27]
	v_add_f64 v[24:25], v[232:233], v[236:237]
	v_add_f64 v[26:27], v[234:235], -v[230:231]
	v_add_f64 v[32:33], v[14:15], v[6:7]
	v_add_f64 v[200:201], v[12:13], -v[4:5]
	v_add_f64 v[4:5], v[4:5], -v[22:23]
	;; [unrolled: 1-line block ×3, first 2 shown]
	v_add_f64 v[22:23], v[22:23], v[30:31]
	v_add_f64 v[20:21], v[228:229], -v[28:29]
	v_add_f64 v[28:29], v[236:237], -v[232:233]
	;; [unrolled: 1-line block ×6, first 2 shown]
	v_add_f64 v[24:25], v[24:25], v[32:33]
	v_add_f64 v[164:165], v[164:165], v[22:23]
	;; [unrolled: 1-line block ×3, first 2 shown]
	v_add_f64 v[210:211], v[28:29], -v[20:21]
	v_add_f64 v[18:19], v[18:19], -v[8:9]
	v_add_f64 v[166:167], v[166:167], v[24:25]
	v_mul_f64 v[214:215], v[208:209], s[14:15]
	v_mov_b64_e32 v[208:209], v[164:165]
	v_add_f64 v[206:207], v[28:29], v[20:21]
	v_add_f64 v[26:27], v[8:9], -v[26:27]
	v_add_f64 v[20:21], v[20:21], -v[10:11]
	v_add_f64 v[8:9], v[204:205], v[8:9]
	v_mul_f64 v[4:5], v[4:5], s[10:11]
	v_mul_f64 v[6:7], v[6:7], s[10:11]
	;; [unrolled: 1-line block ×6, first 2 shown]
	v_fmac_f64_e32 v[208:209], s[16:17], v[22:23]
	v_mov_b64_e32 v[22:23], v[166:167]
	v_add_f64 v[28:29], v[10:11], -v[28:29]
	v_add_f64 v[10:11], v[206:207], v[10:11]
	v_mul_f64 v[206:207], v[20:21], s[12:13]
	v_fmac_f64_e32 v[22:23], s[16:17], v[24:25]
	v_fma_f64 v[24:25], v[200:201], s[18:19], -v[30:31]
	v_fma_f64 v[30:31], v[202:203], s[18:19], -v[32:33]
	;; [unrolled: 1-line block ×3, first 2 shown]
	v_fmac_f64_e32 v[4:5], s[0:1], v[12:13]
	v_fma_f64 v[12:13], v[202:203], s[20:21], -v[6:7]
	v_fmac_f64_e32 v[6:7], s[0:1], v[14:15]
	v_fma_f64 v[14:15], v[18:19], s[12:13], -v[214:215]
	v_fma_f64 v[18:19], v[20:21], s[12:13], -v[212:213]
	;; [unrolled: 1-line block ×3, first 2 shown]
	v_fmac_f64_e32 v[214:215], s[22:23], v[26:27]
	v_fmac_f64_e32 v[212:213], s[22:23], v[28:29]
	v_fma_f64 v[26:27], v[28:29], s[26:27], -v[206:207]
	v_add_f64 v[12:13], v[12:13], v[22:23]
	v_fmac_f64_e32 v[20:21], s[24:25], v[8:9]
	v_add_f64 v[28:29], v[4:5], v[208:209]
	v_add_f64 v[218:219], v[6:7], v[22:23]
	;; [unrolled: 1-line block ×4, first 2 shown]
	v_fmac_f64_e32 v[212:213], s[24:25], v[10:11]
	v_fmac_f64_e32 v[14:15], s[24:25], v[8:9]
	v_fmac_f64_e32 v[18:19], s[24:25], v[10:11]
	v_fmac_f64_e32 v[26:27], s[24:25], v[10:11]
	v_add_f64 v[10:11], v[12:13], -v[20:21]
	v_add_f64 v[210:211], v[20:21], v[12:13]
	v_add_f64 v[12:13], v[238:239], v[52:53]
	;; [unrolled: 1-line block ×5, first 2 shown]
	v_add_f64 v[200:201], v[24:25], -v[18:19]
	v_add_f64 v[202:203], v[14:15], v[30:31]
	v_add_f64 v[204:205], v[18:19], v[24:25]
	v_add_f64 v[206:207], v[30:31], -v[14:15]
	v_add_f64 v[212:213], v[28:29], -v[212:213]
	v_add_f64 v[14:15], v[240:241], v[54:55]
	v_add_f64 v[24:25], v[244:245], v[50:51]
	v_add_f64 v[28:29], v[244:245], -v[50:51]
	v_add_f64 v[30:31], v[246:247], v[250:251]
	v_add_f64 v[50:51], v[22:23], v[12:13]
	v_fmac_f64_e32 v[214:215], s[24:25], v[8:9]
	v_add_f64 v[8:9], v[26:27], v[32:33]
	v_add_f64 v[208:209], v[32:33], -v[26:27]
	v_add_f64 v[18:19], v[238:239], -v[52:53]
	;; [unrolled: 1-line block ×3, first 2 shown]
	v_add_f64 v[32:33], v[248:249], v[16:17]
	v_add_f64 v[16:17], v[16:17], -v[248:249]
	v_add_f64 v[52:53], v[24:25], v[14:15]
	v_add_f64 v[50:51], v[30:31], v[50:51]
	v_add_f64 v[6:7], v[218:219], -v[214:215]
	v_add_f64 v[214:215], v[214:215], v[218:219]
	v_add_f64 v[26:27], v[242:243], -v[48:49]
	v_add_f64 v[48:49], v[250:251], -v[246:247]
	;; [unrolled: 1-line block ×5, first 2 shown]
	v_add_f64 v[222:223], v[16:17], v[28:29]
	v_add_f64 v[226:227], v[16:17], -v[28:29]
	v_add_f64 v[228:229], v[28:29], -v[20:21]
	v_add_f64 v[32:33], v[32:33], v[52:53]
	v_add_f64 v[28:29], v[160:161], v[50:51]
	v_add_f64 v[54:55], v[22:23], -v[12:13]
	v_add_f64 v[12:13], v[12:13], -v[30:31]
	;; [unrolled: 1-line block ×5, first 2 shown]
	v_add_f64 v[20:21], v[222:223], v[20:21]
	v_add_f64 v[30:31], v[162:163], v[32:33]
	v_mov_b64_e32 v[222:223], v[28:29]
	v_add_f64 v[220:221], v[48:49], v[26:27]
	v_add_f64 v[26:27], v[26:27], -v[18:19]
	v_mul_f64 v[12:13], v[12:13], s[10:11]
	v_mul_f64 v[14:15], v[14:15], s[10:11]
	;; [unrolled: 1-line block ×5, first 2 shown]
	v_fmac_f64_e32 v[222:223], s[16:17], v[50:51]
	v_mov_b64_e32 v[50:51], v[30:31]
	v_add_f64 v[48:49], v[18:19], -v[48:49]
	v_add_f64 v[18:19], v[220:221], v[18:19]
	v_mul_f64 v[160:161], v[24:25], s[0:1]
	v_mul_f64 v[162:163], v[26:27], s[12:13]
	;; [unrolled: 1-line block ×3, first 2 shown]
	v_fmac_f64_e32 v[50:51], s[16:17], v[32:33]
	v_fma_f64 v[32:33], v[54:55], s[18:19], -v[52:53]
	v_fma_f64 v[54:55], v[54:55], s[20:21], -v[12:13]
	v_fmac_f64_e32 v[12:13], s[0:1], v[22:23]
	v_fma_f64 v[22:23], v[218:219], s[20:21], -v[14:15]
	v_fmac_f64_e32 v[14:15], s[0:1], v[24:25]
	v_fma_f64 v[24:25], v[26:27], s[12:13], -v[230:231]
	v_fma_f64 v[26:27], v[228:229], s[12:13], -v[226:227]
	v_fmac_f64_e32 v[226:227], s[22:23], v[16:17]
	v_fma_f64 v[52:53], v[218:219], s[18:19], -v[160:161]
	v_fmac_f64_e32 v[230:231], s[22:23], v[48:49]
	v_fma_f64 v[224:225], v[48:49], s[26:27], -v[162:163]
	v_fma_f64 v[16:17], v[16:17], s[26:27], -v[220:221]
	v_add_f64 v[12:13], v[12:13], v[222:223]
	v_fmac_f64_e32 v[226:227], s[24:25], v[20:21]
	v_add_f64 v[14:15], v[14:15], v[50:51]
	v_add_f64 v[32:33], v[32:33], v[222:223]
	;; [unrolled: 1-line block ×5, first 2 shown]
	v_fmac_f64_e32 v[230:231], s[24:25], v[18:19]
	v_fmac_f64_e32 v[24:25], s[24:25], v[18:19]
	;; [unrolled: 1-line block ×5, first 2 shown]
	v_add_f64 v[48:49], v[226:227], v[12:13]
	v_add_f64 v[226:227], v[12:13], -v[226:227]
	v_add_f64 v[12:13], v[34:35], v[60:61]
	v_add_f64 v[20:21], v[36:37], v[56:57]
	v_add_f64 v[50:51], v[14:15], -v[230:231]
	v_add_f64 v[52:53], v[16:17], v[222:223]
	v_add_f64 v[54:55], v[22:23], -v[224:225]
	v_add_f64 v[160:161], v[32:33], -v[26:27]
	v_add_f64 v[162:163], v[24:25], v[220:221]
	v_add_f64 v[218:219], v[26:27], v[32:33]
	v_add_f64 v[220:221], v[220:221], -v[24:25]
	v_add_f64 v[222:223], v[222:223], -v[16:17]
	v_add_f64 v[224:225], v[224:225], v[22:23]
	v_add_f64 v[228:229], v[230:231], v[14:15]
	;; [unrolled: 1-line block ×3, first 2 shown]
	v_add_f64 v[16:17], v[34:35], -v[60:61]
	v_add_f64 v[22:23], v[38:39], v[58:59]
	v_add_f64 v[24:25], v[36:37], -v[56:57]
	v_add_f64 v[26:27], v[38:39], -v[58:59]
	v_add_f64 v[32:33], v[40:41], v[44:45]
	v_add_f64 v[34:35], v[42:43], v[46:47]
	v_add_f64 v[36:37], v[44:45], -v[40:41]
	v_add_f64 v[38:39], v[46:47], -v[42:43]
	v_add_f64 v[40:41], v[20:21], v[12:13]
	v_add_f64 v[18:19], v[216:217], -v[62:63]
	v_add_f64 v[42:43], v[22:23], v[14:15]
	v_add_f64 v[44:45], v[20:21], -v[12:13]
	v_add_f64 v[46:47], v[22:23], -v[14:15]
	;; [unrolled: 1-line block ×5, first 2 shown]
	v_add_f64 v[56:57], v[36:37], v[24:25]
	v_add_f64 v[58:59], v[38:39], v[26:27]
	v_add_f64 v[62:63], v[38:39], -v[26:27]
	v_add_f64 v[32:33], v[32:33], v[40:41]
	v_add_f64 v[22:23], v[34:35], -v[22:23]
	v_add_f64 v[60:61], v[36:37], -v[24:25]
	;; [unrolled: 1-line block ×6, first 2 shown]
	v_add_f64 v[34:35], v[34:35], v[42:43]
	v_add_f64 v[40:41], v[56:57], v[16:17]
	;; [unrolled: 1-line block ×4, first 2 shown]
	v_mul_f64 v[16:17], v[12:13], s[10:11]
	v_mul_f64 v[18:19], v[14:15], s[10:11]
	;; [unrolled: 1-line block ×4, first 2 shown]
	v_add_f64 v[158:159], v[158:159], v[34:35]
	v_mul_f64 v[56:57], v[22:23], s[0:1]
	v_mul_f64 v[58:59], v[60:61], s[14:15]
	;; [unrolled: 1-line block ×3, first 2 shown]
	v_fma_f64 v[32:33], s[16:17], v[32:33], v[156:157]
	v_fma_f64 v[230:231], v[44:45], s[18:19], -v[14:15]
	v_fma_f64 v[232:233], v[26:27], s[12:13], -v[12:13]
	v_mul_f64 v[62:63], v[26:27], s[12:13]
	v_fma_f64 v[34:35], s[16:17], v[34:35], v[158:159]
	v_fma_f64 v[216:217], s[0:1], v[20:21], v[16:17]
	v_fma_f64 v[56:57], v[46:47], s[18:19], -v[56:57]
	v_fma_f64 v[44:45], v[44:45], s[20:21], -v[16:17]
	;; [unrolled: 1-line block ×3, first 2 shown]
	v_fmac_f64_e32 v[18:19], s[0:1], v[22:23]
	v_fma_f64 v[14:15], s[22:23], v[36:37], v[58:59]
	v_fma_f64 v[58:59], v[24:25], s[12:13], -v[58:59]
	v_fma_f64 v[22:23], v[36:37], s[26:27], -v[60:61]
	v_add_f64 v[36:37], v[230:231], v[32:33]
	v_fmac_f64_e32 v[232:233], s[24:25], v[42:43]
	v_fmac_f64_e32 v[12:13], s[22:23], v[38:39]
	v_fma_f64 v[20:21], v[38:39], s[26:27], -v[62:63]
	v_add_f64 v[16:17], v[216:217], v[32:33]
	v_add_f64 v[38:39], v[56:57], v[34:35]
	;; [unrolled: 1-line block ×3, first 2 shown]
	v_fmac_f64_e32 v[58:59], s[24:25], v[40:41]
	v_add_f64 v[32:33], v[36:37], -v[232:233]
	v_add_f64 v[18:19], v[18:19], v[34:35]
	v_add_f64 v[26:27], v[46:47], v[34:35]
	;; [unrolled: 1-line block ×3, first 2 shown]
	v_accvgpr_write_b32 a4, v32
	v_accvgpr_write_b32 a5, v33
	;; [unrolled: 1-line block ×4, first 2 shown]
	v_add_f64 v[34:35], v[38:39], -v[58:59]
	v_fmac_f64_e32 v[20:21], s[24:25], v[42:43]
	v_add_f64 v[32:33], v[232:233], v[36:37]
	v_accvgpr_write_b32 a41, v35
	v_fmac_f64_e32 v[22:23], s[24:25], v[40:41]
	v_accvgpr_write_b32 a40, v34
	v_accvgpr_write_b32 a39, v33
	;; [unrolled: 1-line block ×3, first 2 shown]
	v_add_f64 v[32:33], v[24:25], -v[20:21]
	v_fmac_f64_e32 v[12:13], s[24:25], v[42:43]
	v_add_f64 v[34:35], v[22:23], v[26:27]
	v_accvgpr_write_b32 a30, v32
	v_fmac_f64_e32 v[14:15], s[24:25], v[40:41]
	v_accvgpr_write_b32 a31, v33
	v_accvgpr_write_b32 a32, v34
	;; [unrolled: 1-line block ×3, first 2 shown]
	v_add_f64 v[32:33], v[16:17], -v[12:13]
	v_add_f64 v[34:35], v[14:15], v[18:19]
	v_accvgpr_write_b32 a0, v32
	v_accvgpr_write_b32 a1, v33
	v_accvgpr_write_b32 a2, v34
	v_accvgpr_write_b32 a3, v35
	ds_write_b128 v252, v[168:171]
	ds_write_b128 v252, v[172:175] offset:3456
	ds_write_b128 v252, v[176:179] offset:6912
	;; [unrolled: 1-line block ×20, first 2 shown]
	s_and_saveexec_b64 s[0:1], vcc
	s_cbranch_execz .LBB0_5
; %bb.4:
	v_add_f64 v[6:7], v[26:27], -v[22:23]
	v_add_f64 v[4:5], v[20:21], v[24:25]
	v_add_f64 v[10:11], v[18:19], -v[14:15]
	v_add_f64 v[8:9], v[12:13], v[16:17]
	ds_write_b128 v252, v[156:159] offset:3024
	ds_write_b128 v252, v[8:11] offset:6480
	;; [unrolled: 1-line block ×7, first 2 shown]
.LBB0_5:
	s_or_b64 exec, exec, s[0:1]
	v_lshlrev_b32_e32 v4, 4, v254
	v_mov_b32_e32 v5, 0
	v_lshl_add_u64 v[6:7], s[8:9], 0, v[4:5]
	s_mov_b64 s[0:1], 0x5e80
	v_lshl_add_u64 v[20:21], v[6:7], 0, s[0:1]
	s_movk_i32 s0, 0x5000
	v_add_co_u32_e64 v4, s[0:1], s0, v6
	s_waitcnt lgkmcnt(0)
	s_nop 0
	v_addc_co_u32_e64 v5, s[0:1], 0, v7, s[0:1]
	; wave barrier
	global_load_dwordx4 v[12:15], v[4:5], off offset:3712
	ds_read_b128 v[8:11], v252
	ds_read_b128 v[156:159], v252 offset:9072
	s_mov_b32 s0, 0x8000
	v_accvgpr_read_b32 v39, a29
	v_accvgpr_read_b32 v38, a28
	;; [unrolled: 1-line block ×14, first 2 shown]
	s_mov_b32 s9, 0x3febb67a
	s_waitcnt vmcnt(0) lgkmcnt(1)
	v_mul_f64 v[4:5], v[10:11], v[14:15]
	v_fma_f64 v[16:17], v[8:9], v[12:13], -v[4:5]
	v_add_co_u32_e64 v4, s[0:1], s0, v6
	v_mul_f64 v[18:19], v[8:9], v[14:15]
	s_nop 0
	v_addc_co_u32_e64 v5, s[0:1], 0, v7, s[0:1]
	v_fmac_f64_e32 v[18:19], v[10:11], v[12:13]
	global_load_dwordx4 v[12:15], v[4:5], off offset:3520
	ds_read_b128 v[8:11], v252 offset:12096
	ds_write_b128 v252, v[16:19]
	s_mov_b32 s0, 0x9000
	v_add_co_u32_e64 v22, s[0:1], s0, v6
	s_waitcnt vmcnt(0) lgkmcnt(1)
	v_mul_f64 v[16:17], v[10:11], v[14:15]
	v_mul_f64 v[18:19], v[8:9], v[14:15]
	v_fma_f64 v[16:17], v[8:9], v[12:13], -v[16:17]
	v_fmac_f64_e32 v[18:19], v[10:11], v[12:13]
	global_load_dwordx4 v[12:15], v[20:21], off offset:1008
	ds_read_b128 v[8:11], v252 offset:1008
	ds_write_b128 v252, v[16:19] offset:12096
	v_addc_co_u32_e64 v23, s[0:1], 0, v7, s[0:1]
	s_movk_i32 s0, 0x7000
	s_waitcnt vmcnt(0) lgkmcnt(1)
	v_mul_f64 v[16:17], v[10:11], v[14:15]
	v_mul_f64 v[18:19], v[8:9], v[14:15]
	v_fma_f64 v[16:17], v[8:9], v[12:13], -v[16:17]
	v_fmac_f64_e32 v[18:19], v[10:11], v[12:13]
	global_load_dwordx4 v[12:15], v[22:23], off offset:432
	ds_read_b128 v[8:11], v252 offset:13104
	ds_write_b128 v252, v[16:19] offset:1008
	s_waitcnt vmcnt(0) lgkmcnt(1)
	v_mul_f64 v[16:17], v[10:11], v[14:15]
	v_mul_f64 v[18:19], v[8:9], v[14:15]
	v_fma_f64 v[16:17], v[8:9], v[12:13], -v[16:17]
	v_fmac_f64_e32 v[18:19], v[10:11], v[12:13]
	global_load_dwordx4 v[12:15], v[20:21], off offset:2016
	ds_read_b128 v[8:11], v252 offset:2016
	ds_write_b128 v252, v[16:19] offset:13104
	s_waitcnt vmcnt(0) lgkmcnt(1)
	v_mul_f64 v[16:17], v[10:11], v[14:15]
	v_mul_f64 v[18:19], v[8:9], v[14:15]
	v_fma_f64 v[16:17], v[8:9], v[12:13], -v[16:17]
	v_fmac_f64_e32 v[18:19], v[10:11], v[12:13]
	global_load_dwordx4 v[12:15], v[22:23], off offset:1440
	ds_read_b128 v[8:11], v252 offset:14112
	ds_write_b128 v252, v[16:19] offset:2016
	s_waitcnt vmcnt(0) lgkmcnt(1)
	v_mul_f64 v[16:17], v[10:11], v[14:15]
	v_mul_f64 v[18:19], v[8:9], v[14:15]
	v_fma_f64 v[16:17], v[8:9], v[12:13], -v[16:17]
	v_fmac_f64_e32 v[18:19], v[10:11], v[12:13]
	global_load_dwordx4 v[12:15], v[20:21], off offset:3024
	ds_read_b128 v[8:11], v252 offset:3024
	ds_write_b128 v252, v[16:19] offset:14112
	s_waitcnt vmcnt(0) lgkmcnt(1)
	v_mul_f64 v[16:17], v[10:11], v[14:15]
	v_mul_f64 v[18:19], v[8:9], v[14:15]
	v_fma_f64 v[16:17], v[8:9], v[12:13], -v[16:17]
	v_fmac_f64_e32 v[18:19], v[10:11], v[12:13]
	global_load_dwordx4 v[12:15], v[22:23], off offset:2448
	ds_read_b128 v[8:11], v252 offset:15120
	ds_write_b128 v252, v[16:19] offset:3024
	s_waitcnt vmcnt(0) lgkmcnt(1)
	v_mul_f64 v[16:17], v[10:11], v[14:15]
	v_mul_f64 v[18:19], v[8:9], v[14:15]
	v_fma_f64 v[16:17], v[8:9], v[12:13], -v[16:17]
	v_fmac_f64_e32 v[18:19], v[10:11], v[12:13]
	global_load_dwordx4 v[12:15], v[20:21], off offset:4032
	ds_read_b128 v[8:11], v252 offset:4032
	ds_write_b128 v252, v[16:19] offset:15120
	v_add_co_u32_e64 v20, s[0:1], s0, v6
	s_waitcnt vmcnt(0) lgkmcnt(1)
	v_mul_f64 v[16:17], v[10:11], v[14:15]
	v_mul_f64 v[18:19], v[8:9], v[14:15]
	v_fma_f64 v[16:17], v[8:9], v[12:13], -v[16:17]
	v_fmac_f64_e32 v[18:19], v[10:11], v[12:13]
	global_load_dwordx4 v[12:15], v[22:23], off offset:3456
	ds_read_b128 v[8:11], v252 offset:16128
	ds_write_b128 v252, v[16:19] offset:4032
	v_addc_co_u32_e64 v21, s[0:1], 0, v7, s[0:1]
	s_mov_b32 s0, 0xa000
	s_nop 0
	v_add_co_u32_e64 v22, s[0:1], s0, v6
	s_waitcnt vmcnt(0) lgkmcnt(1)
	v_mul_f64 v[16:17], v[10:11], v[14:15]
	v_mul_f64 v[18:19], v[8:9], v[14:15]
	v_fma_f64 v[16:17], v[8:9], v[12:13], -v[16:17]
	v_fmac_f64_e32 v[18:19], v[10:11], v[12:13]
	global_load_dwordx4 v[12:15], v[20:21], off offset:560
	ds_read_b128 v[8:11], v252 offset:5040
	ds_write_b128 v252, v[16:19] offset:16128
	v_addc_co_u32_e64 v23, s[0:1], 0, v7, s[0:1]
	s_mov_b32 s0, 0xb000
	s_waitcnt vmcnt(0) lgkmcnt(1)
	v_mul_f64 v[16:17], v[10:11], v[14:15]
	v_mul_f64 v[18:19], v[8:9], v[14:15]
	v_fma_f64 v[16:17], v[8:9], v[12:13], -v[16:17]
	v_fmac_f64_e32 v[18:19], v[10:11], v[12:13]
	global_load_dwordx4 v[12:15], v[22:23], off offset:368
	ds_read_b128 v[8:11], v252 offset:17136
	ds_write_b128 v252, v[16:19] offset:5040
	s_waitcnt vmcnt(0) lgkmcnt(1)
	v_mul_f64 v[16:17], v[10:11], v[14:15]
	v_mul_f64 v[18:19], v[8:9], v[14:15]
	v_fma_f64 v[16:17], v[8:9], v[12:13], -v[16:17]
	v_fmac_f64_e32 v[18:19], v[10:11], v[12:13]
	global_load_dwordx4 v[12:15], v[20:21], off offset:1568
	ds_read_b128 v[8:11], v252 offset:6048
	ds_write_b128 v252, v[16:19] offset:17136
	;; [unrolled: 8-line block ×7, first 2 shown]
	s_waitcnt vmcnt(0) lgkmcnt(1)
	v_mul_f64 v[16:17], v[10:11], v[14:15]
	v_mul_f64 v[18:19], v[8:9], v[14:15]
	v_fma_f64 v[16:17], v[8:9], v[12:13], -v[16:17]
	v_fmac_f64_e32 v[18:19], v[10:11], v[12:13]
	global_load_dwordx4 v[8:11], v[4:5], off offset:496
	ds_write_b128 v252, v[16:19] offset:20160
	v_add_co_u32_e64 v18, s[0:1], s0, v6
	s_waitcnt vmcnt(0)
	v_mul_f64 v[12:13], v[158:159], v[10:11]
	v_mul_f64 v[14:15], v[156:157], v[10:11]
	v_addc_co_u32_e64 v19, s[0:1], 0, v7, s[0:1]
	v_fma_f64 v[12:13], v[156:157], v[8:9], -v[12:13]
	v_fmac_f64_e32 v[14:15], v[158:159], v[8:9]
	global_load_dwordx4 v[6:9], v[18:19], off offset:304
	ds_read_b128 v[156:159], v252 offset:21168
	ds_write_b128 v252, v[12:15] offset:9072
	s_mov_b32 s0, 0xe8584caa
	s_mov_b32 s1, 0xbfebb67a
	;; [unrolled: 1-line block ×3, first 2 shown]
	s_waitcnt vmcnt(0) lgkmcnt(1)
	v_mul_f64 v[10:11], v[158:159], v[8:9]
	v_mul_f64 v[12:13], v[156:157], v[8:9]
	v_fma_f64 v[10:11], v[156:157], v[6:7], -v[10:11]
	v_fmac_f64_e32 v[12:13], v[158:159], v[6:7]
	ds_write_b128 v252, v[10:13] offset:21168
	global_load_dwordx4 v[10:13], v[4:5], off offset:1504
	ds_read_b128 v[6:9], v252 offset:10080
	s_waitcnt vmcnt(0) lgkmcnt(0)
	v_mul_f64 v[14:15], v[8:9], v[12:13]
	v_mul_f64 v[16:17], v[6:7], v[12:13]
	v_fma_f64 v[14:15], v[6:7], v[10:11], -v[14:15]
	v_fmac_f64_e32 v[16:17], v[8:9], v[10:11]
	global_load_dwordx4 v[10:13], v[18:19], off offset:1312
	ds_read_b128 v[6:9], v252 offset:22176
	ds_write_b128 v252, v[14:17] offset:10080
	s_waitcnt vmcnt(0) lgkmcnt(1)
	v_mul_f64 v[14:15], v[8:9], v[12:13]
	v_mul_f64 v[16:17], v[6:7], v[12:13]
	v_fma_f64 v[14:15], v[6:7], v[10:11], -v[14:15]
	v_fmac_f64_e32 v[16:17], v[8:9], v[10:11]
	global_load_dwordx4 v[10:13], v[4:5], off offset:2512
	ds_read_b128 v[6:9], v252 offset:11088
	ds_write_b128 v252, v[14:17] offset:22176
	s_waitcnt vmcnt(0) lgkmcnt(1)
	v_mul_f64 v[4:5], v[8:9], v[12:13]
	v_fma_f64 v[4:5], v[6:7], v[10:11], -v[4:5]
	v_mul_f64 v[6:7], v[6:7], v[12:13]
	v_fmac_f64_e32 v[6:7], v[8:9], v[10:11]
	global_load_dwordx4 v[8:11], v[18:19], off offset:2320
	ds_write_b128 v252, v[4:7] offset:11088
	ds_read_b128 v[4:7], v252 offset:23184
	s_waitcnt vmcnt(0) lgkmcnt(0)
	v_mul_f64 v[12:13], v[6:7], v[10:11]
	v_mul_f64 v[14:15], v[4:5], v[10:11]
	v_fma_f64 v[12:13], v[4:5], v[8:9], -v[12:13]
	v_fmac_f64_e32 v[14:15], v[6:7], v[8:9]
	ds_write_b128 v252, v[12:15] offset:23184
	s_waitcnt lgkmcnt(0)
	; wave barrier
	s_waitcnt lgkmcnt(0)
	ds_read_b128 v[196:199], v252
	ds_read_b128 v[244:247], v252 offset:12096
	ds_read_b128 v[232:235], v252 offset:1008
	;; [unrolled: 1-line block ×23, first 2 shown]
	s_waitcnt lgkmcnt(14)
	v_add_f64 v[240:241], v[232:233], -v[240:241]
	v_add_f64 v[248:249], v[196:197], -v[244:245]
	v_fma_f64 v[244:245], v[232:233], 2.0, -v[240:241]
	v_add_f64 v[232:233], v[224:225], -v[236:237]
	v_fma_f64 v[236:237], v[224:225], 2.0, -v[232:233]
	;; [unrolled: 2-line block ×4, first 2 shown]
	s_waitcnt lgkmcnt(12)
	v_add_f64 v[208:209], v[200:201], -v[212:213]
	v_fma_f64 v[212:213], v[200:201], 2.0, -v[208:209]
	s_waitcnt lgkmcnt(10)
	v_add_f64 v[200:201], v[192:193], -v[204:205]
	v_fma_f64 v[204:205], v[192:193], 2.0, -v[200:201]
	;; [unrolled: 3-line block ×3, first 2 shown]
	v_fma_f64 v[196:197], v[184:185], 2.0, -v[192:193]
	s_waitcnt lgkmcnt(6)
	v_add_f64 v[184:185], v[172:173], -v[188:189]
	v_fma_f64 v[188:189], v[172:173], 2.0, -v[184:185]
	s_waitcnt lgkmcnt(4)
	v_add_f64 v[172:173], v[164:165], -v[176:177]
	v_add_f64 v[250:251], v[198:199], -v[246:247]
	;; [unrolled: 1-line block ×3, first 2 shown]
	v_fma_f64 v[176:177], v[164:165], 2.0, -v[172:173]
	s_waitcnt lgkmcnt(2)
	v_add_f64 v[164:165], v[156:157], -v[168:169]
	v_fma_f64 v[14:15], v[198:199], 2.0, -v[250:251]
	v_fma_f64 v[246:247], v[234:235], 2.0, -v[242:243]
	v_add_f64 v[234:235], v[226:227], -v[238:239]
	v_fma_f64 v[168:169], v[156:157], 2.0, -v[164:165]
	s_waitcnt lgkmcnt(0)
	v_add_f64 v[156:157], v[160:161], -v[4:5]
	v_accvgpr_read_b32 v4, a169
	v_fma_f64 v[238:239], v[226:227], 2.0, -v[234:235]
	s_waitcnt lgkmcnt(0)
	; wave barrier
	ds_write_b128 v253, v[12:15]
	ds_write_b128 v253, v[248:251] offset:16
	ds_write_b128 v4, v[244:247]
	ds_write_b128 v4, v[240:243] offset:16
	v_accvgpr_read_b32 v4, a25
	ds_write_b128 v4, v[236:239]
	ds_write_b128 v4, v[232:235] offset:16
	scratch_load_dword v4, off, off offset:580 ; 4-byte Folded Reload
	v_add_f64 v[226:227], v[218:219], -v[230:231]
	v_fma_f64 v[230:231], v[218:219], 2.0, -v[226:227]
	s_waitcnt vmcnt(0)
	ds_write_b128 v4, v[228:231]
	ds_write_b128 v4, v[224:227] offset:16
	scratch_load_dword v4, off, off offset:572 ; 4-byte Folded Reload
	v_add_f64 v[218:219], v[210:211], -v[222:223]
	v_fma_f64 v[222:223], v[210:211], 2.0, -v[218:219]
	s_waitcnt vmcnt(0)
	;; [unrolled: 6-line block ×8, first 2 shown]
	ds_write_b128 v4, v[168:171]
	ds_write_b128 v4, v[164:167] offset:16
	scratch_load_dword v4, off, off offset:512 ; 4-byte Folded Reload
	v_add_f64 v[158:159], v[162:163], -v[6:7]
	v_fma_f64 v[160:161], v[160:161], 2.0, -v[156:157]
	v_fma_f64 v[162:163], v[162:163], 2.0, -v[158:159]
	s_waitcnt vmcnt(0)
	ds_write_b128 v4, v[160:163]
	ds_write_b128 v4, v[156:159] offset:16
	s_waitcnt lgkmcnt(0)
	; wave barrier
	s_waitcnt lgkmcnt(0)
	ds_read_b128 v[168:171], v252
	ds_read_b128 v[12:15], v252 offset:12096
	ds_read_b128 v[164:167], v252 offset:1008
	;; [unrolled: 1-line block ×23, first 2 shown]
	s_waitcnt lgkmcnt(12)
	v_mul_f64 v[32:33], v[38:39], v[226:227]
	v_mul_f64 v[34:35], v[38:39], v[224:225]
	v_fmac_f64_e32 v[32:33], v[36:37], v[224:225]
	v_fma_f64 v[34:35], v[36:37], v[226:227], -v[34:35]
	s_waitcnt lgkmcnt(10)
	v_mul_f64 v[36:37], v[2:3], v[10:11]
	v_accvgpr_read_b32 v38, a94
	v_mul_f64 v[20:21], v[2:3], v[14:15]
	v_fmac_f64_e32 v[36:37], v[0:1], v[8:9]
	v_mul_f64 v[8:9], v[2:3], v[8:9]
	v_accvgpr_read_b32 v40, a96
	v_accvgpr_read_b32 v41, a97
	v_fmac_f64_e32 v[20:21], v[0:1], v[12:13]
	v_mul_f64 v[12:13], v[2:3], v[12:13]
	v_fma_f64 v[8:9], v[0:1], v[10:11], -v[8:9]
	v_accvgpr_read_b32 v39, a95
	s_waitcnt lgkmcnt(8)
	v_mul_f64 v[10:11], v[40:41], v[6:7]
	v_fma_f64 v[22:23], v[0:1], v[14:15], -v[12:13]
	v_fmac_f64_e32 v[10:11], v[38:39], v[4:5]
	v_mul_f64 v[4:5], v[40:41], v[4:5]
	v_fma_f64 v[4:5], v[38:39], v[6:7], -v[4:5]
	v_add_f64 v[246:247], v[170:171], -v[22:23]
	v_fma_f64 v[250:251], v[170:171], 2.0, -v[246:247]
	v_add_f64 v[170:171], v[194:195], -v[4:5]
	s_waitcnt lgkmcnt(0)
	; wave barrier
	s_waitcnt lgkmcnt(0)
	scratch_load_dword v4, off, off offset:456 ; 4-byte Folded Reload
	v_add_f64 v[244:245], v[168:169], -v[20:21]
	v_fma_f64 v[248:249], v[168:169], 2.0, -v[244:245]
	s_waitcnt vmcnt(0)
	ds_write_b128 v4, v[248:251]
	ds_write_b128 v4, v[244:247] offset:32
	scratch_load_dword v4, off, off offset:444 ; 4-byte Folded Reload
	v_mul_f64 v[12:13], v[50:51], v[18:19]
	v_mul_f64 v[14:15], v[50:51], v[16:17]
	v_fmac_f64_e32 v[12:13], v[28:29], v[16:17]
	v_fma_f64 v[16:17], v[28:29], v[18:19], -v[14:15]
	v_add_f64 v[236:237], v[164:165], -v[12:13]
	v_add_f64 v[238:239], v[166:167], -v[16:17]
	v_fma_f64 v[240:241], v[164:165], 2.0, -v[236:237]
	v_fma_f64 v[242:243], v[166:167], 2.0, -v[238:239]
	s_waitcnt vmcnt(0)
	ds_write_b128 v4, v[240:243]
	ds_write_b128 v4, v[236:239] offset:32
	scratch_load_dword v4, off, off offset:260 ; 4-byte Folded Reload
	v_accvgpr_read_b32 v31, a15
	v_mul_f64 v[14:15], v[2:3], v[26:27]
	v_mul_f64 v[18:19], v[2:3], v[24:25]
	v_accvgpr_read_b32 v30, a14
	v_fmac_f64_e32 v[14:15], v[0:1], v[24:25]
	v_fma_f64 v[18:19], v[0:1], v[26:27], -v[18:19]
	v_accvgpr_read_b32 v29, a13
	v_accvgpr_read_b32 v28, a12
	v_mul_f64 v[24:25], v[30:31], v[234:235]
	v_mul_f64 v[26:27], v[30:31], v[232:233]
	v_fmac_f64_e32 v[24:25], v[28:29], v[232:233]
	v_fma_f64 v[26:27], v[28:29], v[234:235], -v[26:27]
	v_mul_f64 v[28:29], v[2:3], v[230:231]
	v_mul_f64 v[30:31], v[2:3], v[228:229]
	v_fmac_f64_e32 v[28:29], v[0:1], v[228:229]
	v_fma_f64 v[30:31], v[0:1], v[230:231], -v[30:31]
	v_add_f64 v[228:229], v[160:161], -v[14:15]
	v_add_f64 v[230:231], v[162:163], -v[18:19]
	v_fma_f64 v[232:233], v[160:161], 2.0, -v[228:229]
	v_fma_f64 v[234:235], v[162:163], 2.0, -v[230:231]
	s_waitcnt vmcnt(0)
	ds_write_b128 v4, v[232:235]
	ds_write_b128 v4, v[228:231] offset:32
	scratch_load_dword v4, off, off offset:448 ; 4-byte Folded Reload
	v_mul_f64 v[6:7], v[2:3], v[222:223]
	v_mul_f64 v[38:39], v[2:3], v[220:221]
	v_fmac_f64_e32 v[6:7], v[0:1], v[220:221]
	v_fma_f64 v[38:39], v[0:1], v[222:223], -v[38:39]
	v_add_f64 v[220:221], v[156:157], -v[24:25]
	v_add_f64 v[222:223], v[158:159], -v[26:27]
	v_fma_f64 v[224:225], v[156:157], 2.0, -v[220:221]
	v_fma_f64 v[226:227], v[158:159], 2.0, -v[222:223]
	s_waitcnt vmcnt(0)
	ds_write_b128 v4, v[224:227]
	ds_write_b128 v4, v[220:223] offset:32
	scratch_load_dword v4, off, off offset:264 ; 4-byte Folded Reload
	v_mul_f64 v[40:41], v[46:47], v[218:219]
	v_mul_f64 v[42:43], v[46:47], v[216:217]
	v_fmac_f64_e32 v[40:41], v[44:45], v[216:217]
	v_fma_f64 v[42:43], v[44:45], v[218:219], -v[42:43]
	v_mul_f64 v[44:45], v[2:3], v[214:215]
	v_mul_f64 v[2:3], v[2:3], v[212:213]
	v_fmac_f64_e32 v[44:45], v[0:1], v[212:213]
	v_fma_f64 v[0:1], v[0:1], v[214:215], -v[2:3]
	v_add_f64 v[212:213], v[204:205], -v[28:29]
	v_add_f64 v[214:215], v[206:207], -v[30:31]
	v_fma_f64 v[216:217], v[204:205], 2.0, -v[212:213]
	v_fma_f64 v[218:219], v[206:207], 2.0, -v[214:215]
	s_waitcnt vmcnt(0)
	ds_write_b128 v4, v[216:219]
	ds_write_b128 v4, v[212:215] offset:32
	scratch_load_dword v4, off, off offset:208 ; 4-byte Folded Reload
	v_accvgpr_read_b32 v46, a198
	v_accvgpr_read_b32 v47, a199
	v_mul_f64 v[2:3], v[46:47], v[210:211]
	v_mul_f64 v[46:47], v[46:47], v[208:209]
	v_add_f64 v[204:205], v[200:201], -v[32:33]
	v_add_f64 v[206:207], v[202:203], -v[34:35]
	v_fmac_f64_e32 v[2:3], v[48:49], v[208:209]
	v_fma_f64 v[48:49], v[48:49], v[210:211], -v[46:47]
	v_fma_f64 v[208:209], v[200:201], 2.0, -v[204:205]
	v_fma_f64 v[210:211], v[202:203], 2.0, -v[206:207]
	s_waitcnt vmcnt(0)
	ds_write_b128 v4, v[208:211]
	ds_write_b128 v4, v[204:207] offset:32
	scratch_load_dword v4, off, off offset:200 ; 4-byte Folded Reload
	v_add_f64 v[200:201], v[196:197], -v[36:37]
	v_add_f64 v[202:203], v[198:199], -v[8:9]
	v_fma_f64 v[196:197], v[196:197], 2.0, -v[200:201]
	v_fma_f64 v[198:199], v[198:199], 2.0, -v[202:203]
	s_waitcnt vmcnt(0)
	ds_write_b128 v4, v[196:199]
	ds_write_b128 v4, v[200:203] offset:32
	scratch_load_dword v4, off, off offset:176 ; 4-byte Folded Reload
	v_add_f64 v[168:169], v[192:193], -v[10:11]
	v_fma_f64 v[192:193], v[192:193], 2.0, -v[168:169]
	v_fma_f64 v[194:195], v[194:195], 2.0, -v[170:171]
	s_waitcnt vmcnt(0)
	ds_write_b128 v4, v[192:195]
	ds_write_b128 v4, v[168:171] offset:32
	scratch_load_dword v4, off, off offset:172 ; 4-byte Folded Reload
	v_add_f64 v[160:161], v[188:189], -v[6:7]
	v_add_f64 v[162:163], v[190:191], -v[38:39]
	v_fma_f64 v[164:165], v[188:189], 2.0, -v[160:161]
	v_fma_f64 v[166:167], v[190:191], 2.0, -v[162:163]
	s_waitcnt vmcnt(0)
	ds_write_b128 v4, v[164:167]
	ds_write_b128 v4, v[160:163] offset:32
	scratch_load_dword v4, off, off offset:152 ; 4-byte Folded Reload
	v_add_f64 v[56:57], v[184:185], -v[40:41]
	;; [unrolled: 8-line block ×4, first 2 shown]
	v_add_f64 v[2:3], v[174:175], -v[48:49]
	v_fma_f64 v[36:37], v[172:173], 2.0, -v[0:1]
	v_fma_f64 v[38:39], v[174:175], 2.0, -v[2:3]
	s_waitcnt vmcnt(0)
	ds_write_b128 v4, v[36:39]
	ds_write_b128 v4, v[0:3] offset:32
	s_waitcnt lgkmcnt(0)
	; wave barrier
	s_waitcnt lgkmcnt(0)
	ds_read_b128 v[156:159], v252
	ds_read_b128 v[8:11], v252 offset:12096
	ds_read_b128 v[56:59], v252 offset:1008
	ds_read_b128 v[12:15], v252 offset:13104
	ds_read_b128 v[52:55], v252 offset:2016
	ds_read_b128 v[18:21], v252 offset:14112
	ds_read_b128 v[44:47], v252 offset:3024
	ds_read_b128 v[28:31], v252 offset:15120
	ds_read_b128 v[36:39], v252 offset:4032
	ds_read_b128 v[32:35], v252 offset:16128
	ds_read_b128 v[0:3], v252 offset:5040
	ds_read_b128 v[40:43], v252 offset:17136
	ds_read_b128 v[168:171], v252 offset:6048
	ds_read_b128 v[48:51], v252 offset:18144
	ds_read_b128 v[160:163], v252 offset:7056
	ds_read_b128 v[60:63], v252 offset:19152
	ds_read_b128 v[164:167], v252 offset:8064
	ds_read_b128 v[196:199], v252 offset:20160
	ds_read_b128 v[192:195], v252 offset:9072
	ds_read_b128 v[4:7], v252 offset:21168
	ds_read_b128 v[188:191], v252 offset:10080
	ds_read_b128 v[176:179], v252 offset:22176
	ds_read_b128 v[184:187], v252 offset:11088
	ds_read_b128 v[172:175], v252 offset:23184
	s_waitcnt lgkmcnt(14)
	v_mul_f64 v[24:25], v[182:183], v[10:11]
	v_accvgpr_read_b32 v211, a189
	v_fmac_f64_e32 v[24:25], v[180:181], v[8:9]
	v_mul_f64 v[8:9], v[182:183], v[8:9]
	v_accvgpr_read_b32 v210, a188
	v_accvgpr_read_b32 v16, a104
	v_fma_f64 v[26:27], v[180:181], v[10:11], -v[8:9]
	v_mul_f64 v[8:9], v[210:211], v[14:15]
	v_accvgpr_read_b32 v17, a105
	v_mul_f64 v[10:11], v[210:211], v[12:13]
	v_accvgpr_read_b32 v207, a185
	v_fmac_f64_e32 v[8:9], v[16:17], v[12:13]
	v_fma_f64 v[16:17], v[16:17], v[14:15], -v[10:11]
	v_accvgpr_read_b32 v206, a184
	v_accvgpr_read_b32 v14, a118
	v_mul_f64 v[10:11], v[206:207], v[20:21]
	v_accvgpr_read_b32 v15, a119
	v_mul_f64 v[12:13], v[206:207], v[18:19]
	v_accvgpr_read_b32 v203, a181
	v_fmac_f64_e32 v[10:11], v[14:15], v[18:19]
	v_fma_f64 v[18:19], v[14:15], v[20:21], -v[12:13]
	v_accvgpr_read_b32 v202, a180
	v_accvgpr_read_b32 v20, a154
	v_mul_f64 v[12:13], v[202:203], v[30:31]
	v_accvgpr_read_b32 v21, a155
	v_mul_f64 v[14:15], v[202:203], v[28:29]
	v_fmac_f64_e32 v[12:13], v[20:21], v[28:29]
	v_fma_f64 v[20:21], v[20:21], v[30:31], -v[14:15]
	v_mul_f64 v[14:15], v[182:183], v[34:35]
	v_mul_f64 v[22:23], v[182:183], v[32:33]
	v_fmac_f64_e32 v[14:15], v[180:181], v[32:33]
	v_fma_f64 v[22:23], v[180:181], v[34:35], -v[22:23]
	v_accvgpr_read_b32 v35, a23
	v_accvgpr_read_b32 v34, a22
	v_accvgpr_read_b32 v33, a21
	v_accvgpr_read_b32 v32, a20
	s_waitcnt lgkmcnt(12)
	v_mul_f64 v[28:29], v[34:35], v[42:43]
	v_mul_f64 v[30:31], v[34:35], v[40:41]
	v_fmac_f64_e32 v[28:29], v[32:33], v[40:41]
	v_fma_f64 v[30:31], v[32:33], v[42:43], -v[30:31]
	v_accvgpr_read_b32 v40, a42
	v_accvgpr_read_b32 v42, a44
	v_accvgpr_read_b32 v43, a45
	v_accvgpr_read_b32 v41, a43
	s_waitcnt lgkmcnt(10)
	;; [unrolled: 9-line block ×3, first 2 shown]
	v_mul_f64 v[42:43], v[50:51], v[60:61]
	v_mul_f64 v[40:41], v[50:51], v[62:63]
	v_fma_f64 v[42:43], v[48:49], v[62:63], -v[42:43]
	v_accvgpr_read_b32 v62, a230
	v_accvgpr_read_b32 v63, a231
	;; [unrolled: 1-line block ×4, first 2 shown]
	v_fmac_f64_e32 v[40:41], v[48:49], v[60:61]
	s_waitcnt lgkmcnt(4)
	v_mul_f64 v[60:61], v[62:63], v[6:7]
	v_fmac_f64_e32 v[60:61], v[208:209], v[4:5]
	v_mul_f64 v[4:5], v[62:63], v[4:5]
	v_fma_f64 v[4:5], v[208:209], v[6:7], -v[4:5]
	v_add_f64 v[222:223], v[54:55], -v[18:19]
	v_fma_f64 v[226:227], v[54:55], 2.0, -v[222:223]
	v_add_f64 v[54:55], v[194:195], -v[4:5]
	s_waitcnt lgkmcnt(0)
	; wave barrier
	s_waitcnt lgkmcnt(0)
	scratch_load_dword v4, off, off offset:140 ; 4-byte Folded Reload
	v_add_f64 v[236:237], v[156:157], -v[24:25]
	v_add_f64 v[238:239], v[158:159], -v[26:27]
	v_fma_f64 v[240:241], v[156:157], 2.0, -v[236:237]
	v_fma_f64 v[242:243], v[158:159], 2.0, -v[238:239]
	s_waitcnt vmcnt(0)
	ds_write_b128 v4, v[240:243]
	ds_write_b128 v4, v[236:239] offset:64
	scratch_load_dword v4, off, off offset:136 ; 4-byte Folded Reload
	v_add_f64 v[228:229], v[56:57], -v[8:9]
	v_add_f64 v[230:231], v[58:59], -v[16:17]
	v_fma_f64 v[232:233], v[56:57], 2.0, -v[228:229]
	v_fma_f64 v[234:235], v[58:59], 2.0, -v[230:231]
	s_waitcnt vmcnt(0)
	ds_write_b128 v4, v[232:235]
	ds_write_b128 v4, v[228:231] offset:64
	scratch_load_dword v4, off, off offset:132 ; 4-byte Folded Reload
	v_add_f64 v[220:221], v[52:53], -v[10:11]
	v_fma_f64 v[224:225], v[52:53], 2.0, -v[220:221]
	s_waitcnt vmcnt(0)
	ds_write_b128 v4, v[224:227]
	ds_write_b128 v4, v[220:223] offset:64
	scratch_load_dword v4, off, off offset:128 ; 4-byte Folded Reload
	v_add_f64 v[212:213], v[44:45], -v[12:13]
	v_add_f64 v[214:215], v[46:47], -v[20:21]
	v_fma_f64 v[216:217], v[44:45], 2.0, -v[212:213]
	v_fma_f64 v[218:219], v[46:47], 2.0, -v[214:215]
	s_waitcnt vmcnt(0)
	ds_write_b128 v4, v[216:219]
	ds_write_b128 v4, v[212:215] offset:64
	scratch_load_dword v4, off, off offset:124 ; 4-byte Folded Reload
	v_accvgpr_read_b32 v62, a220
	v_accvgpr_read_b32 v63, a221
	v_accvgpr_read_b32 v205, a183
	v_accvgpr_read_b32 v204, a182
	v_mul_f64 v[6:7], v[62:63], v[178:179]
	v_mul_f64 v[62:63], v[62:63], v[176:177]
	v_fmac_f64_e32 v[6:7], v[204:205], v[176:177]
	v_fma_f64 v[62:63], v[204:205], v[178:179], -v[62:63]
	v_add_f64 v[204:205], v[36:37], -v[14:15]
	v_add_f64 v[206:207], v[38:39], -v[22:23]
	v_fma_f64 v[208:209], v[36:37], 2.0, -v[204:205]
	v_fma_f64 v[210:211], v[38:39], 2.0, -v[206:207]
	s_waitcnt vmcnt(0)
	ds_write_b128 v4, v[208:211]
	ds_write_b128 v4, v[204:207] offset:64
	scratch_load_dword v4, off, off offset:120 ; 4-byte Folded Reload
	v_accvgpr_read_b32 v176, a204
	v_accvgpr_read_b32 v177, a205
	;; [unrolled: 1-line block ×4, first 2 shown]
	v_mul_f64 v[48:49], v[182:183], v[198:199]
	v_mul_f64 v[50:51], v[182:183], v[196:197]
	;; [unrolled: 1-line block ×3, first 2 shown]
	v_fmac_f64_e32 v[48:49], v[180:181], v[196:197]
	v_fma_f64 v[50:51], v[180:181], v[198:199], -v[50:51]
	v_fmac_f64_e32 v[244:245], v[200:201], v[172:173]
	v_mul_f64 v[172:173], v[176:177], v[172:173]
	v_add_f64 v[196:197], v[0:1], -v[28:29]
	v_add_f64 v[198:199], v[2:3], -v[30:31]
	v_fma_f64 v[246:247], v[200:201], v[174:175], -v[172:173]
	v_fma_f64 v[200:201], v[0:1], 2.0, -v[196:197]
	v_fma_f64 v[202:203], v[2:3], 2.0, -v[198:199]
	s_waitcnt vmcnt(0)
	ds_write_b128 v4, v[200:203]
	ds_write_b128 v4, v[196:199] offset:64
	scratch_load_dword v4, off, off offset:116 ; 4-byte Folded Reload
	v_add_f64 v[176:177], v[168:169], -v[32:33]
	v_add_f64 v[178:179], v[170:171], -v[34:35]
	v_fma_f64 v[180:181], v[168:169], 2.0, -v[176:177]
	v_fma_f64 v[182:183], v[170:171], 2.0, -v[178:179]
	s_waitcnt vmcnt(0)
	ds_write_b128 v4, v[180:183]
	ds_write_b128 v4, v[176:179] offset:64
	scratch_load_dword v4, off, off offset:112 ; 4-byte Folded Reload
	v_add_f64 v[168:169], v[160:161], -v[40:41]
	v_add_f64 v[170:171], v[162:163], -v[42:43]
	;; [unrolled: 8-line block ×3, first 2 shown]
	v_fma_f64 v[164:165], v[164:165], 2.0, -v[160:161]
	v_fma_f64 v[166:167], v[166:167], 2.0, -v[162:163]
	s_waitcnt vmcnt(0)
	ds_write_b128 v4, v[164:167]
	ds_write_b128 v4, v[160:163] offset:64
	scratch_load_dword v4, off, off offset:32 ; 4-byte Folded Reload
	v_add_f64 v[52:53], v[192:193], -v[60:61]
	v_fma_f64 v[156:157], v[192:193], 2.0, -v[52:53]
	v_fma_f64 v[158:159], v[194:195], 2.0, -v[54:55]
	s_waitcnt vmcnt(0)
	ds_write_b128 v4, v[156:159]
	ds_write_b128 v4, v[52:55] offset:64
	scratch_load_dword v4, off, off offset:36 ; 4-byte Folded Reload
	v_add_f64 v[36:37], v[188:189], -v[6:7]
	v_add_f64 v[38:39], v[190:191], -v[62:63]
	v_fma_f64 v[56:57], v[188:189], 2.0, -v[36:37]
	v_fma_f64 v[58:59], v[190:191], 2.0, -v[38:39]
	s_waitcnt vmcnt(0)
	ds_write_b128 v4, v[56:59]
	ds_write_b128 v4, v[36:39] offset:64
	scratch_load_dword v4, off, off offset:40 ; 4-byte Folded Reload
	v_add_f64 v[0:1], v[184:185], -v[244:245]
	v_add_f64 v[2:3], v[186:187], -v[246:247]
	v_accvgpr_read_b32 v16, a106
	v_fma_f64 v[44:45], v[184:185], 2.0, -v[0:1]
	v_fma_f64 v[46:47], v[186:187], 2.0, -v[2:3]
	v_accvgpr_read_b32 v18, a108
	v_accvgpr_read_b32 v19, a109
	;; [unrolled: 1-line block ×3, first 2 shown]
	s_waitcnt vmcnt(0)
	ds_write_b128 v4, v[44:47]
	ds_write_b128 v4, v[0:3] offset:64
	s_waitcnt lgkmcnt(0)
	; wave barrier
	s_waitcnt lgkmcnt(0)
	ds_read_b128 v[56:59], v252
	ds_read_b128 v[208:211], v252 offset:8064
	ds_read_b128 v[196:199], v252 offset:16128
	;; [unrolled: 1-line block ×23, first 2 shown]
	v_accvgpr_read_b32 v17, a107
	s_waitcnt lgkmcnt(14)
	v_mul_f64 v[12:13], v[18:19], v[210:211]
	v_mul_f64 v[14:15], v[18:19], v[208:209]
	v_accvgpr_read_b32 v22, a102
	v_accvgpr_read_b32 v23, a103
	v_accvgpr_read_b32 v24, a110
	v_fmac_f64_e32 v[12:13], v[16:17], v[208:209]
	v_fma_f64 v[14:15], v[16:17], v[210:211], -v[14:15]
	v_accvgpr_read_b32 v21, a101
	v_mul_f64 v[16:17], v[22:23], v[198:199]
	v_mul_f64 v[18:19], v[22:23], v[196:197]
	v_accvgpr_read_b32 v26, a112
	v_accvgpr_read_b32 v27, a113
	v_accvgpr_read_b32 v28, a114
	v_fmac_f64_e32 v[16:17], v[20:21], v[196:197]
	v_fma_f64 v[18:19], v[20:21], v[198:199], -v[18:19]
	v_accvgpr_read_b32 v25, a111
	;; [unrolled: 8-line block ×6, first 2 shown]
	s_waitcnt lgkmcnt(13)
	v_mul_f64 v[40:41], v[50:51], v[202:203]
	v_mul_f64 v[42:43], v[50:51], v[200:201]
	v_accvgpr_read_b32 v62, a144
	v_accvgpr_read_b32 v63, a145
	v_fmac_f64_e32 v[40:41], v[48:49], v[200:201]
	v_fma_f64 v[42:43], v[48:49], v[202:203], -v[42:43]
	v_accvgpr_read_b32 v61, a143
	s_waitcnt lgkmcnt(12)
	v_mul_f64 v[48:49], v[62:63], v[10:11]
	v_fmac_f64_e32 v[48:49], v[60:61], v[8:9]
	v_mul_f64 v[8:9], v[62:63], v[8:9]
	v_fma_f64 v[8:9], v[60:61], v[10:11], -v[8:9]
	v_accvgpr_read_b32 v60, a150
	v_accvgpr_read_b32 v62, a152
	;; [unrolled: 1-line block ×4, first 2 shown]
	s_waitcnt lgkmcnt(10)
	v_mul_f64 v[10:11], v[62:63], v[6:7]
	v_fmac_f64_e32 v[10:11], v[60:61], v[4:5]
	v_mul_f64 v[4:5], v[62:63], v[4:5]
	v_fma_f64 v[4:5], v[60:61], v[6:7], -v[4:5]
	v_accvgpr_read_b32 v60, a156
	v_accvgpr_read_b32 v62, a158
	;; [unrolled: 1-line block ×4, first 2 shown]
	s_waitcnt lgkmcnt(9)
	v_mul_f64 v[6:7], v[62:63], v[194:195]
	v_mul_f64 v[50:51], v[62:63], v[192:193]
	v_fmac_f64_e32 v[6:7], v[60:61], v[192:193]
	v_fma_f64 v[50:51], v[60:61], v[194:195], -v[50:51]
	v_accvgpr_read_b32 v195, a167
	v_accvgpr_read_b32 v194, a166
	;; [unrolled: 1-line block ×4, first 2 shown]
	s_waitcnt lgkmcnt(7)
	v_mul_f64 v[60:61], v[194:195], v[190:191]
	v_mul_f64 v[62:63], v[194:195], v[188:189]
	v_fmac_f64_e32 v[60:61], v[192:193], v[188:189]
	v_fma_f64 v[62:63], v[192:193], v[190:191], -v[62:63]
	v_accvgpr_read_b32 v191, a177
	v_accvgpr_read_b32 v190, a176
	v_accvgpr_read_b32 v189, a175
	v_accvgpr_read_b32 v188, a174
	s_waitcnt lgkmcnt(6)
	v_mul_f64 v[198:199], v[190:191], v[186:187]
	v_fmac_f64_e32 v[198:199], v[188:189], v[184:185]
	v_mul_f64 v[184:185], v[190:191], v[184:185]
	v_fma_f64 v[208:209], v[188:189], v[186:187], -v[184:185]
	v_accvgpr_read_b32 v184, a190
	v_accvgpr_read_b32 v186, a192
	v_accvgpr_read_b32 v187, a193
	v_accvgpr_read_b32 v185, a191
	s_waitcnt lgkmcnt(4)
	v_mul_f64 v[210:211], v[186:187], v[182:183]
	v_fmac_f64_e32 v[210:211], v[184:185], v[180:181]
	v_mul_f64 v[180:181], v[186:187], v[180:181]
	;; [unrolled: 9-line block ×5, first 2 shown]
	v_fma_f64 v[236:237], v[172:173], v[170:171], -v[168:169]
	v_add_f64 v[168:169], v[56:57], v[12:13]
	v_add_f64 v[220:221], v[168:169], v[16:17]
	v_add_f64 v[168:169], v[12:13], v[16:17]
	v_fmac_f64_e32 v[56:57], -0.5, v[168:169]
	v_add_f64 v[168:169], v[14:15], -v[18:19]
	v_fma_f64 v[216:217], s[0:1], v[168:169], v[56:57]
	v_fmac_f64_e32 v[56:57], s[8:9], v[168:169]
	v_add_f64 v[168:169], v[58:59], v[14:15]
	v_add_f64 v[14:15], v[14:15], v[18:19]
	v_fmac_f64_e32 v[58:59], -0.5, v[14:15]
	v_add_f64 v[12:13], v[12:13], -v[16:17]
	v_fma_f64 v[218:219], s[8:9], v[12:13], v[58:59]
	v_fmac_f64_e32 v[58:59], s[0:1], v[12:13]
	v_add_f64 v[12:13], v[164:165], v[20:21]
	v_add_f64 v[204:205], v[12:13], v[24:25]
	v_add_f64 v[12:13], v[20:21], v[24:25]
	v_fmac_f64_e32 v[164:165], -0.5, v[12:13]
	v_add_f64 v[12:13], v[22:23], -v[26:27]
	v_fma_f64 v[192:193], s[0:1], v[12:13], v[164:165]
	v_fmac_f64_e32 v[164:165], s[8:9], v[12:13]
	v_add_f64 v[12:13], v[166:167], v[22:23]
	;; [unrolled: 7-line block ×5, first 2 shown]
	v_add_f64 v[172:173], v[12:13], v[48:49]
	v_add_f64 v[12:13], v[40:41], v[48:49]
	v_fmac_f64_e32 v[156:157], -0.5, v[12:13]
	v_add_f64 v[12:13], v[42:43], -v[8:9]
	v_add_f64 v[222:223], v[168:169], v[18:19]
	v_fma_f64 v[168:169], s[0:1], v[12:13], v[156:157]
	v_fmac_f64_e32 v[156:157], s[8:9], v[12:13]
	v_add_f64 v[12:13], v[158:159], v[42:43]
	v_add_f64 v[174:175], v[12:13], v[8:9]
	v_add_f64 v[8:9], v[42:43], v[8:9]
	v_fmac_f64_e32 v[158:159], -0.5, v[8:9]
	v_add_f64 v[8:9], v[40:41], -v[48:49]
	v_fma_f64 v[170:171], s[8:9], v[8:9], v[158:159]
	v_fmac_f64_e32 v[158:159], s[0:1], v[8:9]
	v_add_f64 v[8:9], v[52:53], v[10:11]
	v_add_f64 v[184:185], v[8:9], v[6:7]
	;; [unrolled: 1-line block ×3, first 2 shown]
	v_fmac_f64_e32 v[52:53], -0.5, v[8:9]
	v_add_f64 v[8:9], v[4:5], -v[50:51]
	v_fma_f64 v[180:181], s[0:1], v[8:9], v[52:53]
	v_fmac_f64_e32 v[52:53], s[8:9], v[8:9]
	v_add_f64 v[8:9], v[54:55], v[4:5]
	v_add_f64 v[4:5], v[4:5], v[50:51]
	v_fmac_f64_e32 v[54:55], -0.5, v[4:5]
	v_add_f64 v[4:5], v[10:11], -v[6:7]
	v_fma_f64 v[182:183], s[8:9], v[4:5], v[54:55]
	v_fmac_f64_e32 v[54:55], s[0:1], v[4:5]
	v_add_f64 v[4:5], v[44:45], v[60:61]
	v_add_f64 v[200:201], v[4:5], v[198:199]
	v_add_f64 v[4:5], v[60:61], v[198:199]
	v_fmac_f64_e32 v[44:45], -0.5, v[4:5]
	v_add_f64 v[4:5], v[62:63], -v[208:209]
	v_fma_f64 v[196:197], s[0:1], v[4:5], v[44:45]
	v_fmac_f64_e32 v[44:45], s[8:9], v[4:5]
	v_add_f64 v[4:5], v[46:47], v[62:63]
	;; [unrolled: 7-line block ×6, first 2 shown]
	v_add_f64 v[246:247], v[4:5], v[236:237]
	v_add_f64 v[4:5], v[232:233], v[236:237]
	v_fmac_f64_e32 v[2:3], -0.5, v[4:5]
	v_add_f64 v[4:5], v[230:231], -v[234:235]
	v_fma_f64 v[242:243], s[8:9], v[4:5], v[2:3]
	v_fmac_f64_e32 v[2:3], s[0:1], v[4:5]
	s_waitcnt lgkmcnt(0)
	; wave barrier
	scratch_load_dword v4, off, off offset:88 ; 4-byte Folded Reload
	s_waitcnt vmcnt(0)
	ds_write_b128 v4, v[220:223]
	ds_write_b128 v4, v[216:219] offset:128
	ds_write_b128 v4, v[56:59] offset:256
	scratch_load_dword v4, off, off         ; 4-byte Folded Reload
	s_waitcnt vmcnt(0)
	ds_write_b128 v4, v[204:207]
	ds_write_b128 v4, v[192:195] offset:128
	ds_write_b128 v4, v[164:167] offset:256
	scratch_load_dword v4, off, off offset:4 ; 4-byte Folded Reload
	s_waitcnt vmcnt(0)
	ds_write_b128 v4, v[188:191]
	ds_write_b128 v4, v[176:179] offset:128
	ds_write_b128 v4, v[160:163] offset:256
	scratch_load_dword v4, off, off offset:8 ; 4-byte Folded Reload
	s_waitcnt vmcnt(0)
	ds_write_b128 v4, v[172:175]
	ds_write_b128 v4, v[168:171] offset:128
	ds_write_b128 v4, v[156:159] offset:256
	scratch_load_dword v4, off, off offset:12 ; 4-byte Folded Reload
	v_add_f64 v[186:187], v[8:9], v[50:51]
	s_waitcnt vmcnt(0)
	ds_write_b128 v4, v[184:187]
	ds_write_b128 v4, v[180:183] offset:128
	ds_write_b128 v4, v[52:55] offset:256
	scratch_load_dword v4, off, off offset:60 ; 4-byte Folded Reload
	s_waitcnt vmcnt(0)
	ds_write_b128 v4, v[200:203]
	ds_write_b128 v4, v[196:199] offset:128
	ds_write_b128 v4, v[44:47] offset:256
	scratch_load_dword v4, off, off offset:68 ; 4-byte Folded Reload
	;; [unrolled: 5-line block ×3, first 2 shown]
	v_accvgpr_read_b32 v193, a141
	v_accvgpr_read_b32 v192, a140
	s_waitcnt vmcnt(0)
	ds_write_b128 v4, v[244:247]
	ds_write_b128 v4, v[240:243] offset:128
	ds_write_b128 v4, v[0:3] offset:256
	s_waitcnt lgkmcnt(0)
	; wave barrier
	s_waitcnt lgkmcnt(0)
	ds_read_b128 v[0:3], v252
	ds_read_b128 v[8:11], v252 offset:8064
	ds_read_b128 v[4:7], v252 offset:16128
	;; [unrolled: 1-line block ×23, first 2 shown]
	v_accvgpr_read_b32 v191, a139
	v_accvgpr_read_b32 v190, a138
	s_waitcnt lgkmcnt(14)
	v_mul_f64 v[188:189], v[192:193], v[10:11]
	v_fmac_f64_e32 v[188:189], v[190:191], v[8:9]
	v_mul_f64 v[8:9], v[192:193], v[8:9]
	v_accvgpr_read_b32 v195, a149
	v_accvgpr_read_b32 v194, a148
	v_fma_f64 v[10:11], v[190:191], v[10:11], -v[8:9]
	v_accvgpr_read_b32 v193, a147
	v_accvgpr_read_b32 v192, a146
	v_mul_f64 v[190:191], v[194:195], v[6:7]
	v_fmac_f64_e32 v[190:191], v[192:193], v[4:5]
	v_mul_f64 v[4:5], v[194:195], v[4:5]
	v_fma_f64 v[192:193], v[192:193], v[6:7], -v[4:5]
	v_accvgpr_read_b32 v6, a160
	v_accvgpr_read_b32 v8, a162
	v_accvgpr_read_b32 v9, a163
	v_accvgpr_read_b32 v7, a161
	v_mul_f64 v[194:195], v[8:9], v[14:15]
	v_mul_f64 v[4:5], v[8:9], v[12:13]
	v_fmac_f64_e32 v[194:195], v[6:7], v[12:13]
	v_fma_f64 v[196:197], v[6:7], v[14:15], -v[4:5]
	v_accvgpr_read_b32 v6, a170
	v_accvgpr_read_b32 v8, a172
	v_accvgpr_read_b32 v9, a173
	v_accvgpr_read_b32 v7, a171
	v_mul_f64 v[198:199], v[8:9], v[18:19]
	v_mul_f64 v[4:5], v[8:9], v[16:17]
	v_fmac_f64_e32 v[198:199], v[6:7], v[16:17]
	;; [unrolled: 8-line block ×4, first 2 shown]
	v_fma_f64 v[26:27], v[6:7], v[26:27], -v[4:5]
	v_accvgpr_read_b32 v6, a216
	v_accvgpr_read_b32 v8, a218
	v_accvgpr_read_b32 v9, a219
	v_accvgpr_read_b32 v7, a217
	s_waitcnt lgkmcnt(13)
	v_mul_f64 v[206:207], v[8:9], v[30:31]
	v_mul_f64 v[4:5], v[8:9], v[28:29]
	v_fmac_f64_e32 v[206:207], v[6:7], v[28:29]
	v_fma_f64 v[208:209], v[6:7], v[30:31], -v[4:5]
	v_accvgpr_read_b32 v6, a226
	v_accvgpr_read_b32 v8, a228
	v_accvgpr_read_b32 v9, a229
	v_accvgpr_read_b32 v7, a227
	s_waitcnt lgkmcnt(12)
	v_mul_f64 v[210:211], v[8:9], v[34:35]
	v_mul_f64 v[4:5], v[8:9], v[32:33]
	v_fmac_f64_e32 v[210:211], v[6:7], v[32:33]
	;; [unrolled: 9-line block ×10, first 2 shown]
	v_fma_f64 v[186:187], v[6:7], v[186:187], -v[4:5]
	v_add_f64 v[6:7], v[188:189], v[190:191]
	v_add_f64 v[4:5], v[0:1], v[188:189]
	v_fmac_f64_e32 v[0:1], -0.5, v[6:7]
	v_add_f64 v[6:7], v[10:11], -v[192:193]
	v_fma_f64 v[8:9], s[0:1], v[6:7], v[0:1]
	v_fmac_f64_e32 v[0:1], s[8:9], v[6:7]
	v_add_f64 v[6:7], v[2:3], v[10:11]
	v_add_f64 v[10:11], v[10:11], v[192:193]
	v_fmac_f64_e32 v[2:3], -0.5, v[10:11]
	v_add_f64 v[12:13], v[188:189], -v[190:191]
	v_add_f64 v[14:15], v[194:195], v[198:199]
	v_fma_f64 v[10:11], s[8:9], v[12:13], v[2:3]
	v_fmac_f64_e32 v[2:3], s[0:1], v[12:13]
	v_add_f64 v[12:13], v[36:37], v[194:195]
	v_fmac_f64_e32 v[36:37], -0.5, v[14:15]
	v_add_f64 v[14:15], v[196:197], -v[18:19]
	v_fma_f64 v[16:17], s[0:1], v[14:15], v[36:37]
	v_fmac_f64_e32 v[36:37], s[8:9], v[14:15]
	v_add_f64 v[14:15], v[38:39], v[196:197]
	v_add_f64 v[14:15], v[14:15], v[18:19]
	v_add_f64 v[18:19], v[196:197], v[18:19]
	v_fmac_f64_e32 v[38:39], -0.5, v[18:19]
	v_add_f64 v[20:21], v[194:195], -v[198:199]
	v_add_f64 v[22:23], v[200:201], v[204:205]
	v_fma_f64 v[18:19], s[8:9], v[20:21], v[38:39]
	v_fmac_f64_e32 v[38:39], s[0:1], v[20:21]
	v_add_f64 v[20:21], v[44:45], v[200:201]
	v_fmac_f64_e32 v[44:45], -0.5, v[22:23]
	v_add_f64 v[22:23], v[202:203], -v[26:27]
	v_fma_f64 v[24:25], s[0:1], v[22:23], v[44:45]
	v_fmac_f64_e32 v[44:45], s[8:9], v[22:23]
	v_add_f64 v[22:23], v[46:47], v[202:203]
	;; [unrolled: 13-line block ×7, first 2 shown]
	v_add_f64 v[182:183], v[182:183], v[186:187]
	v_add_f64 v[186:187], v[232:233], v[186:187]
	v_fmac_f64_e32 v[166:167], -0.5, v[186:187]
	v_add_f64 v[188:189], v[230:231], -v[234:235]
	v_fma_f64 v[186:187], s[8:9], v[188:189], v[166:167]
	v_fmac_f64_e32 v[166:167], s[0:1], v[188:189]
	s_waitcnt lgkmcnt(0)
	; wave barrier
	scratch_load_dword v188, off, off offset:180 ; 4-byte Folded Reload
	v_add_f64 v[4:5], v[4:5], v[190:191]
	v_add_f64 v[6:7], v[6:7], v[192:193]
	s_waitcnt vmcnt(0)
	ds_write_b128 v188, v[4:7]
	ds_write_b128 v188, v[8:11] offset:384
	ds_write_b128 v188, v[0:3] offset:768
	scratch_load_dword v0, off, off offset:204 ; 4-byte Folded Reload
	v_add_f64 v[12:13], v[12:13], v[198:199]
	s_waitcnt vmcnt(0)
	ds_write_b128 v0, v[12:15]
	ds_write_b128 v0, v[16:19] offset:384
	ds_write_b128 v0, v[36:39] offset:768
	scratch_load_dword v0, off, off offset:452 ; 4-byte Folded Reload
	v_add_f64 v[20:21], v[20:21], v[204:205]
	s_waitcnt vmcnt(0)
	ds_write_b128 v0, v[20:23]
	ds_write_b128 v0, v[24:27] offset:384
	ds_write_b128 v0, v[44:47] offset:768
	scratch_load_dword v0, off, off offset:460 ; 4-byte Folded Reload
	v_add_f64 v[28:29], v[28:29], v[210:211]
	s_waitcnt vmcnt(0)
	ds_write_b128 v0, v[28:31]
	ds_write_b128 v0, v[32:35] offset:384
	ds_write_b128 v0, v[52:55] offset:768
	scratch_load_dword v0, off, off offset:464 ; 4-byte Folded Reload
	v_add_f64 v[40:41], v[40:41], v[216:217]
	s_waitcnt vmcnt(0)
	ds_write_b128 v0, v[40:43]
	ds_write_b128 v0, v[48:51] offset:384
	ds_write_b128 v0, v[56:59] offset:768
	scratch_load_dword v0, off, off offset:468 ; 4-byte Folded Reload
	v_add_f64 v[60:61], v[60:61], v[222:223]
	s_waitcnt vmcnt(0)
	ds_write_b128 v0, v[60:63]
	ds_write_b128 v0, v[168:171] offset:384
	ds_write_b128 v0, v[156:159] offset:768
	scratch_load_dword v0, off, off offset:472 ; 4-byte Folded Reload
	v_add_f64 v[172:173], v[172:173], v[228:229]
	s_waitcnt vmcnt(0)
	ds_write_b128 v0, v[172:175]
	ds_write_b128 v0, v[176:179] offset:384
	ds_write_b128 v0, v[160:163] offset:768
	scratch_load_dword v0, off, off offset:492 ; 4-byte Folded Reload
	v_accvgpr_read_b32 v193, a61
	v_add_f64 v[180:181], v[180:181], v[234:235]
	v_accvgpr_read_b32 v192, a60
	s_waitcnt vmcnt(0)
	ds_write_b128 v0, v[180:183]
	ds_write_b128 v0, v[184:187] offset:384
	ds_write_b128 v0, v[164:167] offset:768
	s_waitcnt lgkmcnt(0)
	; wave barrier
	s_waitcnt lgkmcnt(0)
	ds_read_b128 v[36:39], v252
	ds_read_b128 v[8:11], v252 offset:8064
	ds_read_b128 v[4:7], v252 offset:16128
	;; [unrolled: 1-line block ×23, first 2 shown]
	v_accvgpr_read_b32 v191, a59
	v_accvgpr_read_b32 v190, a58
	s_waitcnt lgkmcnt(14)
	v_mul_f64 v[188:189], v[192:193], v[10:11]
	v_fmac_f64_e32 v[188:189], v[190:191], v[8:9]
	v_mul_f64 v[8:9], v[192:193], v[8:9]
	v_fma_f64 v[8:9], v[190:191], v[10:11], -v[8:9]
	v_accvgpr_read_b32 v193, a65
	v_accvgpr_read_b32 v192, a64
	;; [unrolled: 1-line block ×4, first 2 shown]
	v_mul_f64 v[10:11], v[192:193], v[6:7]
	v_fmac_f64_e32 v[10:11], v[190:191], v[4:5]
	v_mul_f64 v[4:5], v[192:193], v[4:5]
	v_fma_f64 v[4:5], v[190:191], v[6:7], -v[4:5]
	v_accvgpr_read_b32 v193, a69
	v_accvgpr_read_b32 v192, a68
	;; [unrolled: 1-line block ×5, first 2 shown]
	v_mul_f64 v[6:7], v[192:193], v[14:15]
	v_accvgpr_read_b32 v196, a72
	v_fmac_f64_e32 v[6:7], v[190:191], v[12:13]
	v_mul_f64 v[12:13], v[192:193], v[12:13]
	v_accvgpr_read_b32 v195, a71
	v_accvgpr_read_b32 v194, a70
	v_mul_f64 v[192:193], v[196:197], v[18:19]
	v_fma_f64 v[190:191], v[190:191], v[14:15], -v[12:13]
	v_fmac_f64_e32 v[192:193], v[194:195], v[16:17]
	v_mul_f64 v[12:13], v[196:197], v[16:17]
	v_accvgpr_read_b32 v14, a74
	v_accvgpr_read_b32 v16, a76
	;; [unrolled: 1-line block ×3, first 2 shown]
	v_fma_f64 v[194:195], v[194:195], v[18:19], -v[12:13]
	v_accvgpr_read_b32 v15, a75
	v_mul_f64 v[196:197], v[16:17], v[22:23]
	v_mul_f64 v[12:13], v[16:17], v[20:21]
	v_fmac_f64_e32 v[196:197], v[14:15], v[20:21]
	v_fma_f64 v[198:199], v[14:15], v[22:23], -v[12:13]
	v_accvgpr_read_b32 v14, a78
	v_accvgpr_read_b32 v16, a80
	;; [unrolled: 1-line block ×4, first 2 shown]
	v_mul_f64 v[200:201], v[16:17], v[26:27]
	v_mul_f64 v[12:13], v[16:17], v[24:25]
	v_fmac_f64_e32 v[200:201], v[14:15], v[24:25]
	v_fma_f64 v[202:203], v[14:15], v[26:27], -v[12:13]
	v_accvgpr_read_b32 v14, a82
	v_accvgpr_read_b32 v16, a84
	v_accvgpr_read_b32 v17, a85
	v_accvgpr_read_b32 v15, a83
	s_waitcnt lgkmcnt(13)
	v_mul_f64 v[204:205], v[16:17], v[30:31]
	v_mul_f64 v[12:13], v[16:17], v[28:29]
	v_fmac_f64_e32 v[204:205], v[14:15], v[28:29]
	v_fma_f64 v[206:207], v[14:15], v[30:31], -v[12:13]
	v_accvgpr_read_b32 v17, a11
	v_accvgpr_read_b32 v16, a10
	v_accvgpr_read_b32 v15, a9
	v_accvgpr_read_b32 v14, a8
	s_waitcnt lgkmcnt(12)
	v_mul_f64 v[208:209], v[16:17], v[34:35]
	v_mul_f64 v[12:13], v[16:17], v[32:33]
	v_fmac_f64_e32 v[208:209], v[14:15], v[32:33]
	v_fma_f64 v[210:211], v[14:15], v[34:35], -v[12:13]
	v_accvgpr_read_b32 v14, a34
	v_accvgpr_read_b32 v16, a36
	v_accvgpr_read_b32 v17, a37
	v_accvgpr_read_b32 v15, a35
	s_waitcnt lgkmcnt(10)
	v_mul_f64 v[212:213], v[16:17], v[42:43]
	v_mul_f64 v[12:13], v[16:17], v[40:41]
	v_fmac_f64_e32 v[212:213], v[14:15], v[40:41]
	v_fma_f64 v[214:215], v[14:15], v[42:43], -v[12:13]
	v_accvgpr_read_b32 v14, a90
	v_accvgpr_read_b32 v16, a92
	v_accvgpr_read_b32 v17, a93
	v_accvgpr_read_b32 v15, a91
	s_waitcnt lgkmcnt(9)
	v_mul_f64 v[216:217], v[16:17], v[50:51]
	v_mul_f64 v[12:13], v[16:17], v[48:49]
	v_fmac_f64_e32 v[216:217], v[14:15], v[48:49]
	v_fma_f64 v[218:219], v[14:15], v[50:51], -v[12:13]
	v_accvgpr_read_b32 v14, a16
	v_accvgpr_read_b32 v16, a18
	v_accvgpr_read_b32 v17, a19
	v_accvgpr_read_b32 v15, a17
	s_waitcnt lgkmcnt(7)
	v_mul_f64 v[12:13], v[16:17], v[60:61]
	v_fma_f64 v[222:223], v[14:15], v[62:63], -v[12:13]
	s_waitcnt lgkmcnt(6)
	v_mul_f64 v[224:225], v[66:67], v[170:171]
	v_mul_f64 v[12:13], v[66:67], v[168:169]
	v_fmac_f64_e32 v[224:225], v[64:65], v[168:169]
	v_fma_f64 v[168:169], v[64:65], v[170:171], -v[12:13]
	s_waitcnt lgkmcnt(4)
	v_mul_f64 v[170:171], v[70:71], v[174:175]
	v_mul_f64 v[12:13], v[70:71], v[172:173]
	v_fmac_f64_e32 v[170:171], v[68:69], v[172:173]
	v_fma_f64 v[172:173], v[68:69], v[174:175], -v[12:13]
	s_waitcnt lgkmcnt(3)
	v_mul_f64 v[174:175], v[74:75], v[178:179]
	v_mul_f64 v[12:13], v[74:75], v[176:177]
	;; [unrolled: 1-line block ×3, first 2 shown]
	v_fmac_f64_e32 v[174:175], v[72:73], v[176:177]
	v_fma_f64 v[176:177], v[72:73], v[178:179], -v[12:13]
	s_waitcnt lgkmcnt(1)
	v_mul_f64 v[178:179], v[78:79], v[182:183]
	v_mul_f64 v[12:13], v[78:79], v[180:181]
	v_fmac_f64_e32 v[220:221], v[14:15], v[60:61]
	v_fmac_f64_e32 v[178:179], v[76:77], v[180:181]
	v_fma_f64 v[180:181], v[76:77], v[182:183], -v[12:13]
	s_waitcnt lgkmcnt(0)
	v_mul_f64 v[182:183], v[82:83], v[186:187]
	v_mul_f64 v[12:13], v[82:83], v[184:185]
	v_add_f64 v[14:15], v[188:189], v[10:11]
	v_fmac_f64_e32 v[182:183], v[80:81], v[184:185]
	v_fma_f64 v[184:185], v[80:81], v[186:187], -v[12:13]
	v_add_f64 v[12:13], v[36:37], v[188:189]
	v_fmac_f64_e32 v[36:37], -0.5, v[14:15]
	v_add_f64 v[14:15], v[8:9], -v[4:5]
	v_fma_f64 v[16:17], s[0:1], v[14:15], v[36:37]
	v_fmac_f64_e32 v[36:37], s[8:9], v[14:15]
	v_add_f64 v[14:15], v[38:39], v[8:9]
	v_add_f64 v[14:15], v[14:15], v[4:5]
	;; [unrolled: 1-line block ×4, first 2 shown]
	v_fmac_f64_e32 v[38:39], -0.5, v[4:5]
	v_add_f64 v[4:5], v[188:189], -v[10:11]
	v_fma_f64 v[18:19], s[8:9], v[4:5], v[38:39]
	v_fmac_f64_e32 v[38:39], s[0:1], v[4:5]
	s_waitcnt lgkmcnt(0)
	; wave barrier
	ds_write_b128 v252, v[12:15]
	ds_write_b128 v252, v[16:19] offset:1152
	ds_write_b128 v252, v[36:39] offset:2304
	scratch_load_dword v12, off, off offset:576 ; 4-byte Folded Reload
	v_add_f64 v[4:5], v[44:45], v[6:7]
	v_add_f64 v[20:21], v[4:5], v[192:193]
	v_add_f64 v[4:5], v[6:7], v[192:193]
	v_fmac_f64_e32 v[44:45], -0.5, v[4:5]
	v_add_f64 v[4:5], v[190:191], -v[194:195]
	v_fma_f64 v[24:25], s[0:1], v[4:5], v[44:45]
	v_fmac_f64_e32 v[44:45], s[8:9], v[4:5]
	v_add_f64 v[4:5], v[46:47], v[190:191]
	v_add_f64 v[22:23], v[4:5], v[194:195]
	v_add_f64 v[4:5], v[190:191], v[194:195]
	v_fmac_f64_e32 v[46:47], -0.5, v[4:5]
	v_add_f64 v[4:5], v[6:7], -v[192:193]
	v_fma_f64 v[26:27], s[8:9], v[4:5], v[46:47]
	v_fmac_f64_e32 v[46:47], s[0:1], v[4:5]
	;; [unrolled: 7-line block ×11, first 2 shown]
	v_add_f64 v[4:5], v[166:167], v[172:173]
	s_waitcnt vmcnt(0)
	ds_write_b128 v12, v[20:23]
	ds_write_b128 v12, v[24:27] offset:1152
	ds_write_b128 v12, v[44:47] offset:2304
	v_accvgpr_read_b32 v12, a133
	v_add_f64 v[78:79], v[4:5], v[176:177]
	v_add_f64 v[4:5], v[172:173], v[176:177]
	ds_write_b128 v12, v[28:31]
	ds_write_b128 v12, v[32:35] offset:1152
	ds_write_b128 v12, v[52:55] offset:2304
	v_accvgpr_read_b32 v12, a132
	v_fmac_f64_e32 v[166:167], -0.5, v[4:5]
	v_add_f64 v[4:5], v[170:171], -v[174:175]
	v_add_f64 v[6:7], v[178:179], v[182:183]
	ds_write_b128 v12, v[40:43]
	ds_write_b128 v12, v[48:51] offset:1152
	ds_write_b128 v12, v[56:59] offset:2304
	v_accvgpr_read_b32 v12, a210
	v_fma_f64 v[82:83], s[8:9], v[4:5], v[166:167]
	v_fmac_f64_e32 v[166:167], s[0:1], v[4:5]
	v_add_f64 v[4:5], v[0:1], v[178:179]
	v_fmac_f64_e32 v[0:1], -0.5, v[6:7]
	v_add_f64 v[6:7], v[180:181], -v[184:185]
	v_add_f64 v[10:11], v[180:181], v[184:185]
	ds_write_b128 v12, v[60:63]
	ds_write_b128 v12, v[64:67] offset:1152
	ds_write_b128 v12, v[156:159] offset:2304
	v_accvgpr_read_b32 v12, a211
	v_fma_f64 v[8:9], s[0:1], v[6:7], v[0:1]
	v_fmac_f64_e32 v[0:1], s[8:9], v[6:7]
	v_add_f64 v[6:7], v[2:3], v[180:181]
	v_fmac_f64_e32 v[2:3], -0.5, v[10:11]
	v_add_f64 v[168:169], v[178:179], -v[182:183]
	ds_write_b128 v12, v[68:71]
	ds_write_b128 v12, v[72:75] offset:1152
	ds_write_b128 v12, v[160:163] offset:2304
	v_accvgpr_read_b32 v12, a168
	v_add_f64 v[4:5], v[4:5], v[182:183]
	v_add_f64 v[6:7], v[6:7], v[184:185]
	v_fma_f64 v[10:11], s[8:9], v[168:169], v[2:3]
	v_fmac_f64_e32 v[2:3], s[0:1], v[168:169]
	ds_write_b128 v12, v[76:79]
	ds_write_b128 v12, v[80:83] offset:1152
	ds_write_b128 v12, v[164:167] offset:2304
	;; [unrolled: 1-line block ×5, first 2 shown]
	s_waitcnt lgkmcnt(0)
	; wave barrier
	s_waitcnt lgkmcnt(0)
	ds_read_b128 v[20:23], v252
	ds_read_b128 v[164:167], v252 offset:3456
	ds_read_b128 v[160:163], v252 offset:6912
	;; [unrolled: 1-line block ×20, first 2 shown]
	s_and_saveexec_b64 s[0:1], vcc
	s_cbranch_execz .LBB0_7
; %bb.6:
	ds_read_b128 v[4:7], v252 offset:3024
	ds_read_b128 v[8:11], v252 offset:6480
	ds_read_b128 v[0:3], v252 offset:9936
	ds_read_b128 a[4:7], v252 offset:13392
	ds_read_b128 a[38:41], v252 offset:16848
	ds_read_b128 a[30:33], v252 offset:20304
	ds_read_b128 a[0:3], v252 offset:23760
.LBB0_7:
	s_or_b64 exec, exec, s[0:1]
	s_waitcnt lgkmcnt(14)
	v_mul_f64 v[168:169], v[102:103], v[166:167]
	v_mul_f64 v[102:103], v[102:103], v[164:165]
	v_fmac_f64_e32 v[168:169], v[100:101], v[164:165]
	v_fma_f64 v[100:101], v[100:101], v[166:167], -v[102:103]
	v_mul_f64 v[102:103], v[86:87], v[162:163]
	v_mul_f64 v[86:87], v[86:87], v[160:161]
	v_fmac_f64_e32 v[102:103], v[84:85], v[160:161]
	v_fma_f64 v[84:85], v[84:85], v[162:163], -v[86:87]
	;; [unrolled: 4-line block ×3, first 2 shown]
	v_mul_f64 v[94:95], v[90:91], v[74:75]
	v_fmac_f64_e32 v[94:95], v[88:89], v[72:73]
	v_mul_f64 v[72:73], v[90:91], v[72:73]
	v_mul_f64 v[90:91], v[98:99], v[42:43]
	v_fmac_f64_e32 v[90:91], v[96:97], v[40:41]
	v_mul_f64 v[40:41], v[98:99], v[40:41]
	v_fma_f64 v[40:41], v[96:97], v[42:43], -v[40:41]
	s_waitcnt lgkmcnt(12)
	v_mul_f64 v[96:97], v[126:127], v[78:79]
	v_mul_f64 v[42:43], v[126:127], v[76:77]
	v_fmac_f64_e32 v[96:97], v[124:125], v[76:77]
	v_fma_f64 v[76:77], v[124:125], v[78:79], -v[42:43]
	s_waitcnt lgkmcnt(11)
	v_mul_f64 v[78:79], v[118:119], v[82:83]
	v_mul_f64 v[42:43], v[118:119], v[80:81]
	v_fma_f64 v[72:73], v[88:89], v[74:75], -v[72:73]
	v_mul_f64 v[74:75], v[106:107], v[62:63]
	v_fmac_f64_e32 v[78:79], v[116:117], v[80:81]
	v_fma_f64 v[80:81], v[116:117], v[82:83], -v[42:43]
	s_waitcnt lgkmcnt(10)
	v_mul_f64 v[42:43], v[114:115], v[64:65]
	v_fmac_f64_e32 v[74:75], v[104:105], v[60:61]
	v_mul_f64 v[60:61], v[106:107], v[60:61]
	v_fma_f64 v[98:99], v[112:113], v[66:67], -v[42:43]
	s_waitcnt lgkmcnt(9)
	v_mul_f64 v[42:43], v[110:111], v[68:69]
	v_fma_f64 v[88:89], v[104:105], v[62:63], -v[60:61]
	v_mul_f64 v[104:105], v[110:111], v[70:71]
	v_fma_f64 v[106:107], v[108:109], v[70:71], -v[42:43]
	s_waitcnt lgkmcnt(8)
	v_mul_f64 v[42:43], v[130:131], v[48:49]
	v_mul_f64 v[82:83], v[114:115], v[66:67]
	v_fmac_f64_e32 v[104:105], v[108:109], v[68:69]
	v_fma_f64 v[110:111], v[128:129], v[50:51], -v[42:43]
	s_waitcnt lgkmcnt(7)
	v_mul_f64 v[42:43], v[122:123], v[52:53]
	s_waitcnt lgkmcnt(2)
	v_mul_f64 v[60:61], v[134:135], v[34:35]
	;; [unrolled: 2-line block ×3, first 2 shown]
	v_fmac_f64_e32 v[82:83], v[112:113], v[64:65]
	v_mul_f64 v[108:109], v[130:131], v[50:51]
	v_mul_f64 v[112:113], v[122:123], v[54:55]
	v_fma_f64 v[114:115], v[120:121], v[54:55], -v[42:43]
	v_mul_f64 v[42:43], v[150:151], v[56:57]
	v_fmac_f64_e32 v[60:61], v[132:133], v[32:33]
	v_mul_f64 v[32:33], v[134:135], v[32:33]
	v_mul_f64 v[64:65], v[154:155], v[30:31]
	v_fmac_f64_e32 v[68:69], v[144:145], v[24:25]
	v_mul_f64 v[24:25], v[146:147], v[24:25]
	v_fmac_f64_e32 v[108:109], v[128:129], v[48:49]
	v_fmac_f64_e32 v[112:113], v[120:121], v[52:53]
	v_mul_f64 v[48:49], v[150:151], v[58:59]
	v_fma_f64 v[54:55], v[148:149], v[58:59], -v[42:43]
	v_mul_f64 v[42:43], v[142:143], v[44:45]
	v_mul_f64 v[52:53], v[138:139], v[38:39]
	v_fma_f64 v[62:63], v[132:133], v[34:35], -v[32:33]
	v_fmac_f64_e32 v[64:65], v[152:153], v[28:29]
	v_mul_f64 v[28:29], v[154:155], v[28:29]
	v_fma_f64 v[70:71], v[144:145], v[26:27], -v[24:25]
	v_add_f64 v[24:25], v[168:169], v[90:91]
	v_add_f64 v[32:33], v[102:103], v[74:75]
	v_fmac_f64_e32 v[48:49], v[148:149], v[56:57]
	v_mul_f64 v[50:51], v[142:143], v[46:47]
	v_fma_f64 v[56:57], v[140:141], v[46:47], -v[42:43]
	v_fmac_f64_e32 v[52:53], v[136:137], v[36:37]
	v_mul_f64 v[36:37], v[138:139], v[36:37]
	v_fma_f64 v[66:67], v[152:153], v[30:31], -v[28:29]
	v_add_f64 v[26:27], v[100:101], v[40:41]
	v_add_f64 v[30:31], v[100:101], -v[40:41]
	v_add_f64 v[34:35], v[84:85], v[88:89]
	v_add_f64 v[40:41], v[86:87], v[94:95]
	;; [unrolled: 1-line block ×3, first 2 shown]
	v_add_f64 v[46:47], v[72:73], -v[92:93]
	v_add_f64 v[72:73], v[32:33], v[24:25]
	v_fma_f64 v[58:59], v[136:137], v[38:39], -v[36:37]
	v_add_f64 v[36:37], v[102:103], -v[74:75]
	v_add_f64 v[38:39], v[84:85], -v[88:89]
	v_add_f64 v[74:75], v[34:35], v[26:27]
	v_add_f64 v[84:85], v[32:33], -v[24:25]
	v_add_f64 v[24:25], v[24:25], -v[40:41]
	;; [unrolled: 1-line block ×3, first 2 shown]
	v_add_f64 v[40:41], v[40:41], v[72:73]
	v_fmac_f64_e32 v[50:51], v[140:141], v[44:45]
	v_add_f64 v[28:29], v[168:169], -v[90:91]
	v_add_f64 v[44:45], v[94:95], -v[86:87]
	;; [unrolled: 1-line block ×5, first 2 shown]
	v_add_f64 v[42:43], v[42:43], v[74:75]
	v_add_f64 v[20:21], v[20:21], v[40:41]
	s_mov_b32 s12, 0x36b3c0b5
	s_mov_b32 s14, 0xe976ee23
	;; [unrolled: 1-line block ×4, first 2 shown]
	v_add_f64 v[88:89], v[44:45], v[36:37]
	v_add_f64 v[90:91], v[46:47], v[38:39]
	v_add_f64 v[92:93], v[44:45], -v[36:37]
	v_add_f64 v[94:95], v[46:47], -v[38:39]
	;; [unrolled: 1-line block ×4, first 2 shown]
	v_add_f64 v[22:23], v[22:23], v[42:43]
	s_mov_b32 s13, 0x3fac98ee
	s_mov_b32 s15, 0x3fe11646
	;; [unrolled: 1-line block ×4, first 2 shown]
	v_mov_b64_e32 v[100:101], v[20:21]
	s_mov_b32 s8, 0x5476071b
	s_mov_b32 s24, 0xb247c609
	v_add_f64 v[44:45], v[28:29], -v[44:45]
	v_add_f64 v[46:47], v[30:31], -v[46:47]
	v_add_f64 v[28:29], v[88:89], v[28:29]
	v_add_f64 v[30:31], v[90:91], v[30:31]
	v_mul_f64 v[24:25], v[24:25], s[10:11]
	v_mul_f64 v[26:27], v[26:27], s[10:11]
	;; [unrolled: 1-line block ×8, first 2 shown]
	v_fmac_f64_e32 v[100:101], s[22:23], v[40:41]
	v_mov_b64_e32 v[40:41], v[22:23]
	s_mov_b32 s9, 0x3fe77f67
	s_mov_b32 s17, 0xbfe77f67
	;; [unrolled: 1-line block ×7, first 2 shown]
	v_fmac_f64_e32 v[40:41], s[22:23], v[42:43]
	v_fma_f64 v[42:43], v[84:85], s[8:9], -v[72:73]
	v_fma_f64 v[72:73], v[86:87], s[8:9], -v[74:75]
	;; [unrolled: 1-line block ×3, first 2 shown]
	v_fmac_f64_e32 v[24:25], s[12:13], v[32:33]
	v_fma_f64 v[32:33], v[86:87], s[16:17], -v[26:27]
	v_fma_f64 v[84:85], v[36:37], s[0:1], -v[88:89]
	v_fmac_f64_e32 v[88:89], s[24:25], v[44:45]
	v_fma_f64 v[36:37], v[38:39], s[0:1], -v[90:91]
	v_fmac_f64_e32 v[90:91], s[24:25], v[46:47]
	v_fma_f64 v[44:45], v[44:45], s[20:21], -v[92:93]
	v_fma_f64 v[46:47], v[46:47], s[20:21], -v[94:95]
	s_mov_b32 s19, 0xbfdc38aa
	v_fmac_f64_e32 v[26:27], s[12:13], v[34:35]
	v_add_f64 v[86:87], v[24:25], v[100:101]
	v_add_f64 v[38:39], v[42:43], v[100:101]
	;; [unrolled: 1-line block ×5, first 2 shown]
	v_fmac_f64_e32 v[90:91], s[18:19], v[30:31]
	v_fmac_f64_e32 v[84:85], s[18:19], v[28:29]
	;; [unrolled: 1-line block ×5, first 2 shown]
	v_add_f64 v[92:93], v[26:27], v[40:41]
	v_fmac_f64_e32 v[88:89], s[18:19], v[28:29]
	v_add_f64 v[24:25], v[90:91], v[86:87]
	v_add_f64 v[28:29], v[46:47], v[72:73]
	v_add_f64 v[30:31], v[74:75], -v[44:45]
	v_add_f64 v[32:33], v[38:39], -v[36:37]
	v_add_f64 v[34:35], v[84:85], v[42:43]
	v_add_f64 v[36:37], v[36:37], v[38:39]
	v_add_f64 v[38:39], v[42:43], -v[84:85]
	v_add_f64 v[40:41], v[72:73], -v[46:47]
	v_add_f64 v[42:43], v[44:45], v[74:75]
	v_add_f64 v[44:45], v[86:87], -v[90:91]
	v_add_f64 v[72:73], v[96:97], v[112:113]
	v_add_f64 v[86:87], v[78:79], v[108:109]
	v_add_f64 v[26:27], v[92:93], -v[88:89]
	v_add_f64 v[46:47], v[88:89], v[92:93]
	;; [unrolled: 3-line block ×3, first 2 shown]
	v_add_f64 v[90:91], v[82:83], v[104:105]
	v_add_f64 v[96:97], v[86:87], v[72:73]
	;; [unrolled: 1-line block ×3, first 2 shown]
	v_add_f64 v[94:95], v[106:107], -v[98:99]
	v_add_f64 v[98:99], v[88:89], v[74:75]
	v_add_f64 v[100:101], v[86:87], -v[72:73]
	v_add_f64 v[72:73], v[72:73], -v[90:91]
	;; [unrolled: 1-line block ×3, first 2 shown]
	v_add_f64 v[90:91], v[90:91], v[96:97]
	v_add_f64 v[78:79], v[78:79], -v[108:109]
	v_add_f64 v[82:83], v[104:105], -v[82:83]
	;; [unrolled: 1-line block ×5, first 2 shown]
	v_add_f64 v[92:93], v[92:93], v[98:99]
	v_add_f64 v[16:17], v[16:17], v[90:91]
	v_add_f64 v[76:77], v[76:77], -v[114:115]
	v_add_f64 v[80:81], v[80:81], -v[110:111]
	v_add_f64 v[104:105], v[82:83], v[78:79]
	v_add_f64 v[108:109], v[82:83], -v[78:79]
	v_add_f64 v[18:19], v[18:19], v[92:93]
	v_mov_b64_e32 v[112:113], v[16:17]
	v_add_f64 v[106:107], v[94:95], v[80:81]
	v_add_f64 v[110:111], v[94:95], -v[80:81]
	v_add_f64 v[82:83], v[84:85], -v[82:83]
	;; [unrolled: 1-line block ×4, first 2 shown]
	v_add_f64 v[84:85], v[104:105], v[84:85]
	v_mul_f64 v[72:73], v[72:73], s[10:11]
	v_mul_f64 v[74:75], v[74:75], s[10:11]
	;; [unrolled: 1-line block ×5, first 2 shown]
	v_fmac_f64_e32 v[112:113], s[22:23], v[90:91]
	v_mov_b64_e32 v[90:91], v[18:19]
	v_add_f64 v[94:95], v[76:77], -v[94:95]
	v_add_f64 v[76:77], v[106:107], v[76:77]
	v_mul_f64 v[106:107], v[110:111], s[14:15]
	v_mul_f64 v[110:111], v[80:81], s[0:1]
	v_fmac_f64_e32 v[90:91], s[22:23], v[92:93]
	v_fma_f64 v[92:93], v[100:101], s[8:9], -v[96:97]
	v_fma_f64 v[96:97], v[102:103], s[8:9], -v[98:99]
	;; [unrolled: 1-line block ×3, first 2 shown]
	v_fmac_f64_e32 v[72:73], s[12:13], v[86:87]
	v_fma_f64 v[86:87], v[102:103], s[16:17], -v[74:75]
	v_fmac_f64_e32 v[74:75], s[12:13], v[88:89]
	v_fma_f64 v[88:89], v[78:79], s[0:1], -v[104:105]
	v_mul_f64 v[108:109], v[78:79], s[0:1]
	v_fma_f64 v[100:101], v[80:81], s[0:1], -v[106:107]
	v_fmac_f64_e32 v[106:107], s[24:25], v[94:95]
	v_fma_f64 v[94:95], v[94:95], s[20:21], -v[110:111]
	v_add_f64 v[96:97], v[96:97], v[90:91]
	v_fmac_f64_e32 v[88:89], s[18:19], v[84:85]
	v_fmac_f64_e32 v[104:105], s[24:25], v[82:83]
	v_fma_f64 v[102:103], v[82:83], s[20:21], -v[108:109]
	v_add_f64 v[110:111], v[74:75], v[90:91]
	v_add_f64 v[98:99], v[98:99], v[112:113]
	;; [unrolled: 1-line block ×3, first 2 shown]
	v_fmac_f64_e32 v[94:95], s[18:19], v[76:77]
	v_add_f64 v[82:83], v[88:89], v[96:97]
	v_add_f64 v[86:87], v[96:97], -v[88:89]
	v_add_f64 v[96:97], v[48:49], v[68:69]
	v_add_f64 v[48:49], v[48:49], -v[68:69]
	v_add_f64 v[68:69], v[50:51], v[64:65]
	v_fmac_f64_e32 v[106:107], s[18:19], v[76:77]
	v_fmac_f64_e32 v[100:101], s[18:19], v[76:77]
	v_add_f64 v[76:77], v[94:95], v[98:99]
	v_add_f64 v[88:89], v[98:99], -v[94:95]
	v_add_f64 v[98:99], v[54:55], v[70:71]
	v_add_f64 v[54:55], v[54:55], -v[70:71]
	v_add_f64 v[70:71], v[56:57], v[66:67]
	v_add_f64 v[50:51], v[50:51], -v[64:65]
	v_add_f64 v[64:65], v[52:53], v[60:61]
	v_add_f64 v[52:53], v[60:61], -v[52:53]
	v_add_f64 v[60:61], v[68:69], v[96:97]
	v_add_f64 v[56:57], v[56:57], -v[66:67]
	v_add_f64 v[66:67], v[58:59], v[62:63]
	v_add_f64 v[58:59], v[62:63], -v[58:59]
	v_add_f64 v[62:63], v[70:71], v[98:99]
	v_add_f64 v[60:61], v[64:65], v[60:61]
	;; [unrolled: 1-line block ×4, first 2 shown]
	v_fmac_f64_e32 v[104:105], s[18:19], v[84:85]
	v_fmac_f64_e32 v[102:103], s[18:19], v[84:85]
	v_add_f64 v[62:63], v[66:67], v[62:63]
	v_add_f64 v[12:13], v[12:13], v[60:61]
	;; [unrolled: 1-line block ×3, first 2 shown]
	v_add_f64 v[74:75], v[110:111], -v[104:105]
	v_add_f64 v[78:79], v[90:91], -v[102:103]
	;; [unrolled: 1-line block ×3, first 2 shown]
	v_add_f64 v[84:85], v[100:101], v[92:93]
	v_add_f64 v[90:91], v[102:103], v[90:91]
	v_add_f64 v[92:93], v[108:109], -v[106:107]
	v_add_f64 v[94:95], v[104:105], v[110:111]
	v_add_f64 v[100:101], v[68:69], -v[96:97]
	v_add_f64 v[102:103], v[70:71], -v[98:99]
	;; [unrolled: 1-line block ×6, first 2 shown]
	v_add_f64 v[104:105], v[52:53], v[50:51]
	v_add_f64 v[106:107], v[58:59], v[56:57]
	v_add_f64 v[108:109], v[52:53], -v[50:51]
	v_add_f64 v[110:111], v[58:59], -v[56:57]
	;; [unrolled: 1-line block ×4, first 2 shown]
	v_add_f64 v[14:15], v[14:15], v[62:63]
	v_mov_b64_e32 v[112:113], v[12:13]
	v_add_f64 v[52:53], v[48:49], -v[52:53]
	v_add_f64 v[58:59], v[54:55], -v[58:59]
	v_add_f64 v[48:49], v[104:105], v[48:49]
	v_add_f64 v[54:55], v[106:107], v[54:55]
	v_mul_f64 v[64:65], v[96:97], s[10:11]
	v_mul_f64 v[66:67], v[98:99], s[10:11]
	;; [unrolled: 1-line block ×8, first 2 shown]
	v_fmac_f64_e32 v[112:113], s[22:23], v[60:61]
	v_mov_b64_e32 v[60:61], v[14:15]
	v_fmac_f64_e32 v[60:61], s[22:23], v[62:63]
	v_fma_f64 v[62:63], v[100:101], s[8:9], -v[96:97]
	v_fma_f64 v[96:97], v[102:103], s[8:9], -v[98:99]
	;; [unrolled: 1-line block ×3, first 2 shown]
	v_fmac_f64_e32 v[64:65], s[12:13], v[68:69]
	v_fma_f64 v[68:69], v[102:103], s[16:17], -v[66:67]
	v_fmac_f64_e32 v[66:67], s[12:13], v[70:71]
	v_fma_f64 v[70:71], v[50:51], s[0:1], -v[104:105]
	;; [unrolled: 2-line block ×4, first 2 shown]
	v_fma_f64 v[108:109], v[58:59], s[20:21], -v[110:111]
	v_add_f64 v[110:111], v[64:65], v[112:113]
	v_add_f64 v[114:115], v[66:67], v[60:61]
	;; [unrolled: 1-line block ×6, first 2 shown]
	v_fmac_f64_e32 v[104:105], s[18:19], v[48:49]
	v_fmac_f64_e32 v[106:107], s[18:19], v[54:55]
	v_fmac_f64_e32 v[70:71], s[18:19], v[48:49]
	v_fmac_f64_e32 v[100:101], s[18:19], v[54:55]
	v_fmac_f64_e32 v[102:103], s[18:19], v[48:49]
	v_fmac_f64_e32 v[108:109], s[18:19], v[54:55]
	v_add_f64 v[48:49], v[106:107], v[110:111]
	v_add_f64 v[50:51], v[114:115], -v[104:105]
	v_add_f64 v[52:53], v[108:109], v[66:67]
	v_add_f64 v[54:55], v[68:69], -v[102:103]
	v_add_f64 v[56:57], v[62:63], -v[100:101]
	v_add_f64 v[58:59], v[70:71], v[64:65]
	v_add_f64 v[60:61], v[100:101], v[62:63]
	v_add_f64 v[62:63], v[64:65], -v[70:71]
	v_add_f64 v[64:65], v[66:67], -v[108:109]
	v_add_f64 v[66:67], v[102:103], v[68:69]
	v_add_f64 v[68:69], v[110:111], -v[106:107]
	v_add_f64 v[70:71], v[104:105], v[114:115]
	ds_write_b128 v252, v[20:23]
	ds_write_b128 v252, v[24:27] offset:3456
	ds_write_b128 v252, v[28:31] offset:6912
	;; [unrolled: 1-line block ×20, first 2 shown]
	s_and_saveexec_b64 s[26:27], vcc
	s_cbranch_execz .LBB0_9
; %bb.8:
	scratch_load_dwordx4 v[58:61], off, off offset:664 ; 16-byte Folded Reload
	scratch_load_dwordx4 v[62:65], off, off offset:648 ; 16-byte Folded Reload
	;; [unrolled: 1-line block ×6, first 2 shown]
	v_accvgpr_read_b32 v39, a3
	v_accvgpr_read_b32 v38, a2
	v_accvgpr_read_b32 v37, a1
	v_accvgpr_read_b32 v36, a0
	v_accvgpr_read_b32 v69, a7
	v_accvgpr_read_b32 v77, a33
	v_accvgpr_read_b32 v73, a41
	v_accvgpr_read_b32 v67, a5
	v_accvgpr_read_b32 v66, a4
	v_accvgpr_read_b32 v75, a31
	v_accvgpr_read_b32 v74, a30
	v_accvgpr_read_b32 v72, a40
	v_accvgpr_read_b32 v71, a39
	v_accvgpr_read_b32 v70, a38
	v_accvgpr_read_b32 v68, a6
	v_accvgpr_read_b32 v76, a32
	s_waitcnt vmcnt(5)
	v_mul_f64 v[14:15], v[60:61], v[38:39]
	v_fmac_f64_e32 v[14:15], v[58:59], v[36:37]
	v_mul_f64 v[36:37], v[60:61], v[36:37]
	s_waitcnt vmcnt(2)
	v_mul_f64 v[26:27], v[42:43], v[2:3]
	s_waitcnt vmcnt(1)
	v_mul_f64 v[12:13], v[56:57], v[10:11]
	v_fmac_f64_e32 v[26:27], v[40:41], v[0:1]
	v_mul_f64 v[0:1], v[42:43], v[0:1]
	v_fmac_f64_e32 v[12:13], v[54:55], v[8:9]
	v_fma_f64 v[36:37], v[58:59], v[38:39], -v[36:37]
	v_mul_f64 v[8:9], v[56:57], v[8:9]
	v_mul_f64 v[38:39], v[64:65], v[74:75]
	v_fma_f64 v[40:41], v[40:41], v[2:3], -v[0:1]
	v_mul_f64 v[2:3], v[52:53], v[66:67]
	s_waitcnt vmcnt(0)
	v_mul_f64 v[18:19], v[48:49], v[72:73]
	v_fma_f64 v[8:9], v[54:55], v[10:11], -v[8:9]
	v_fma_f64 v[38:39], v[62:63], v[76:77], -v[38:39]
	;; [unrolled: 1-line block ×3, first 2 shown]
	v_mul_f64 v[2:3], v[48:49], v[70:71]
	v_fmac_f64_e32 v[18:19], v[46:47], v[70:71]
	v_add_f64 v[10:11], v[8:9], v[36:37]
	v_add_f64 v[42:43], v[40:41], v[38:39]
	v_fma_f64 v[46:47], v[46:47], v[72:73], -v[2:3]
	v_add_f64 v[0:1], v[42:43], v[10:11]
	v_add_f64 v[48:49], v[44:45], v[46:47]
	;; [unrolled: 1-line block ×3, first 2 shown]
	v_mul_f64 v[20:21], v[52:53], v[68:69]
	v_add_f64 v[2:3], v[6:7], v[0:1]
	v_fmac_f64_e32 v[20:21], v[50:51], v[66:67]
	v_mov_b64_e32 v[50:51], v[2:3]
	v_mul_f64 v[28:29], v[64:65], v[76:77]
	v_fmac_f64_e32 v[50:51], s[22:23], v[0:1]
	v_add_f64 v[0:1], v[10:11], -v[48:49]
	v_fmac_f64_e32 v[28:29], v[62:63], v[74:75]
	v_mul_f64 v[52:53], v[0:1], s[10:11]
	v_add_f64 v[0:1], v[48:49], -v[42:43]
	v_add_f64 v[16:17], v[12:13], -v[14:15]
	v_mul_f64 v[48:49], v[0:1], s[12:13]
	v_fma_f64 v[0:1], s[12:13], v[0:1], v[52:53]
	v_add_f64 v[12:13], v[12:13], v[14:15]
	v_add_f64 v[14:15], v[26:27], v[28:29]
	v_add_f64 v[22:23], v[18:19], -v[20:21]
	v_add_f64 v[54:55], v[0:1], v[50:51]
	v_add_f64 v[0:1], v[14:15], v[12:13]
	;; [unrolled: 1-line block ×5, first 2 shown]
	v_add_f64 v[30:31], v[26:27], -v[28:29]
	v_mov_b64_e32 v[26:27], v[0:1]
	v_add_f64 v[4:5], v[12:13], -v[18:19]
	v_fmac_f64_e32 v[26:27], s[22:23], v[20:21]
	v_mul_f64 v[20:21], v[4:5], s[10:11]
	v_add_f64 v[4:5], v[18:19], -v[14:15]
	v_add_f64 v[24:25], v[16:17], -v[22:23]
	;; [unrolled: 1-line block ×3, first 2 shown]
	v_add_f64 v[22:23], v[22:23], v[30:31]
	v_mul_f64 v[18:19], v[4:5], s[12:13]
	v_fma_f64 v[4:5], s[12:13], v[4:5], v[20:21]
	v_add_f64 v[22:23], v[22:23], v[16:17]
	v_add_f64 v[28:29], v[4:5], v[26:27]
	v_add_f64 v[8:9], v[8:9], -v[36:37]
	v_add_f64 v[4:5], v[46:47], -v[44:45]
	;; [unrolled: 1-line block ×4, first 2 shown]
	v_mul_f64 v[32:33], v[32:33], s[14:15]
	v_add_f64 v[36:37], v[8:9], -v[4:5]
	v_add_f64 v[40:41], v[4:5], -v[38:39]
	v_add_f64 v[4:5], v[4:5], v[38:39]
	v_mul_f64 v[30:31], v[16:17], s[0:1]
	v_add_f64 v[12:13], v[14:15], -v[12:13]
	v_add_f64 v[38:39], v[38:39], -v[8:9]
	v_fma_f64 v[34:35], s[24:25], v[24:25], v[32:33]
	v_mul_f64 v[40:41], v[40:41], s[14:15]
	v_add_f64 v[46:47], v[4:5], v[8:9]
	v_fma_f64 v[24:25], v[24:25], s[20:21], -v[30:31]
	v_add_f64 v[30:31], v[42:43], -v[10:11]
	v_fma_f64 v[14:15], v[12:13], s[16:17], -v[20:21]
	v_mul_f64 v[8:9], v[38:39], s[0:1]
	v_fma_f64 v[16:17], v[16:17], s[0:1], -v[32:33]
	v_fma_f64 v[12:13], v[12:13], s[8:9], -v[18:19]
	v_fmac_f64_e32 v[34:35], s[18:19], v[22:23]
	v_fma_f64 v[44:45], s[24:25], v[36:37], v[40:41]
	v_fmac_f64_e32 v[24:25], s[18:19], v[22:23]
	v_fma_f64 v[10:11], v[30:31], s[16:17], -v[52:53]
	v_add_f64 v[20:21], v[14:15], v[26:27]
	v_fma_f64 v[36:37], v[36:37], s[20:21], -v[8:9]
	v_fma_f64 v[14:15], v[30:31], s[8:9], -v[48:49]
	v_fmac_f64_e32 v[16:17], s[18:19], v[22:23]
	v_add_f64 v[22:23], v[12:13], v[26:27]
	v_fma_f64 v[26:27], v[38:39], s[0:1], -v[40:41]
	v_fmac_f64_e32 v[44:45], s[18:19], v[46:47]
	v_add_f64 v[42:43], v[10:11], v[50:51]
	v_fmac_f64_e32 v[36:37], s[18:19], v[46:47]
	v_add_f64 v[30:31], v[14:15], v[50:51]
	;; [unrolled: 2-line block ×3, first 2 shown]
	v_add_f64 v[4:5], v[28:29], -v[44:45]
	v_add_f64 v[10:11], v[24:25], v[42:43]
	v_add_f64 v[8:9], v[20:21], -v[36:37]
	v_add_f64 v[14:15], v[30:31], -v[16:17]
	v_add_f64 v[12:13], v[26:27], v[22:23]
	v_add_f64 v[18:19], v[16:17], v[30:31]
	v_add_f64 v[16:17], v[22:23], -v[26:27]
	v_add_f64 v[22:23], v[42:43], -v[24:25]
	v_add_f64 v[20:21], v[36:37], v[20:21]
	v_add_f64 v[26:27], v[54:55], -v[34:35]
	v_add_f64 v[24:25], v[44:45], v[28:29]
	ds_write_b128 v252, v[0:3] offset:3024
	ds_write_b128 v252, v[24:27] offset:6480
	;; [unrolled: 1-line block ×7, first 2 shown]
.LBB0_9:
	s_or_b64 exec, exec, s[26:27]
	s_waitcnt lgkmcnt(0)
	; wave barrier
	s_waitcnt lgkmcnt(0)
	scratch_load_dwordx4 v[16:19], off, off offset:548 ; 16-byte Folded Reload
	ds_read_b128 v[0:3], v252
	v_accvgpr_read_b32 v6, a24
	v_mad_u64_u32 v[14:15], s[0:1], s6, v6, 0
	v_mov_b32_e32 v4, v15
	v_mad_u64_u32 v[4:5], s[0:1], s7, v6, v[4:5]
	v_mov_b32_e32 v15, v4
	ds_read_b128 v[4:7], v252 offset:1008
	s_mov_b32 s0, 0x6b015ac0
	v_mov_b32_e32 v12, s2
	v_mov_b32_e32 v13, s3
	s_mov_b32 s1, 0x3f45ac05
	v_lshl_add_u64 v[12:13], v[14:15], 4, v[12:13]
	s_waitcnt vmcnt(0) lgkmcnt(1)
	v_mul_f64 v[8:9], v[18:19], v[2:3]
	v_fmac_f64_e32 v[8:9], v[16:17], v[0:1]
	v_mul_f64 v[0:1], v[18:19], v[0:1]
	scratch_load_dwordx4 v[18:21], off, off offset:516 ; 16-byte Folded Reload
	v_fma_f64 v[0:1], v[16:17], v[2:3], -v[0:1]
	v_mad_u64_u32 v[16:17], s[2:3], s4, v254, 0
	v_mul_f64 v[10:11], v[0:1], s[0:1]
	v_mov_b32_e32 v0, v17
	v_mad_u64_u32 v[0:1], s[2:3], s5, v254, v[0:1]
	v_mov_b32_e32 v17, v0
	ds_read_b128 v[0:3], v252 offset:12096
	v_mul_f64 v[8:9], v[8:9], s[0:1]
	v_lshl_add_u64 v[16:17], v[16:17], 4, v[12:13]
	global_store_dwordx4 v[16:17], v[8:11], off
	ds_read_b128 v[8:11], v252 offset:13104
	s_waitcnt vmcnt(1) lgkmcnt(1)
	v_mul_f64 v[12:13], v[20:21], v[2:3]
	v_fmac_f64_e32 v[12:13], v[18:19], v[0:1]
	v_mul_f64 v[0:1], v[20:21], v[0:1]
	v_fma_f64 v[0:1], v[18:19], v[2:3], -v[0:1]
	v_mul_f64 v[14:15], v[0:1], s[0:1]
	v_mov_b32_e32 v0, 0x2f40
	v_mad_u64_u32 v[16:17], s[2:3], s4, v0, v[16:17]
	s_mul_i32 s2, s5, 0x2f40
	v_mul_f64 v[12:13], v[12:13], s[0:1]
	v_add_u32_e32 v17, s2, v17
	global_store_dwordx4 v[16:17], v[12:15], off
	scratch_load_dwordx4 v[12:15], off, off offset:496 ; 16-byte Folded Reload
	v_mov_b32_e32 v1, 0xffffd4b0
	s_mul_i32 s3, s5, 0xffffd4b0
	s_sub_i32 s3, s3, s4
	scratch_load_dwordx4 v[20:23], off, off offset:412 ; 16-byte Folded Reload
	s_waitcnt vmcnt(1)
	v_mul_f64 v[2:3], v[14:15], v[6:7]
	v_fmac_f64_e32 v[2:3], v[12:13], v[4:5]
	v_mul_f64 v[4:5], v[14:15], v[4:5]
	v_fma_f64 v[4:5], v[12:13], v[6:7], -v[4:5]
	v_mad_u64_u32 v[12:13], s[6:7], s4, v1, v[16:17]
	scratch_load_dwordx4 v[14:17], off, off offset:476 ; 16-byte Folded Reload
	v_mul_f64 v[2:3], v[2:3], s[0:1]
	v_mul_f64 v[4:5], v[4:5], s[0:1]
	v_add_u32_e32 v13, s3, v13
	global_store_dwordx4 v[12:13], v[2:5], off
	s_waitcnt vmcnt(1) lgkmcnt(0)
	s_nop 0
	v_mul_f64 v[2:3], v[16:17], v[10:11]
	v_mul_f64 v[4:5], v[16:17], v[8:9]
	scratch_load_dwordx4 v[16:19], off, off offset:428 ; 16-byte Folded Reload
	v_fmac_f64_e32 v[2:3], v[14:15], v[8:9]
	ds_read_b128 v[6:9], v252 offset:2016
	v_fma_f64 v[4:5], v[14:15], v[10:11], -v[4:5]
	v_mad_u64_u32 v[14:15], s[6:7], s4, v0, v[12:13]
	v_mul_f64 v[2:3], v[2:3], s[0:1]
	v_mul_f64 v[4:5], v[4:5], s[0:1]
	v_add_u32_e32 v15, s2, v15
	global_store_dwordx4 v[14:15], v[2:5], off
	ds_read_b128 v[2:5], v252 offset:3024
	s_waitcnt vmcnt(1) lgkmcnt(1)
	v_mul_f64 v[10:11], v[18:19], v[8:9]
	v_fmac_f64_e32 v[10:11], v[16:17], v[6:7]
	v_mul_f64 v[6:7], v[18:19], v[6:7]
	v_fma_f64 v[6:7], v[16:17], v[8:9], -v[6:7]
	v_mul_f64 v[12:13], v[6:7], s[0:1]
	ds_read_b128 v[6:9], v252 offset:14112
	v_mad_u64_u32 v[18:19], s[6:7], s4, v1, v[14:15]
	v_mul_f64 v[10:11], v[10:11], s[0:1]
	v_add_u32_e32 v19, s3, v19
	global_store_dwordx4 v[18:19], v[10:13], off
	ds_read_b128 v[10:13], v252 offset:15120
	s_waitcnt lgkmcnt(1)
	v_mul_f64 v[14:15], v[22:23], v[8:9]
	v_fmac_f64_e32 v[14:15], v[20:21], v[6:7]
	v_mul_f64 v[6:7], v[22:23], v[6:7]
	v_fma_f64 v[6:7], v[20:21], v[8:9], -v[6:7]
	v_mad_u64_u32 v[18:19], s[6:7], s4, v0, v[18:19]
	v_mul_f64 v[14:15], v[14:15], s[0:1]
	v_mul_f64 v[16:17], v[6:7], s[0:1]
	v_add_u32_e32 v19, s2, v19
	global_store_dwordx4 v[18:19], v[14:17], off
	scratch_load_dwordx4 v[14:17], off, off offset:396 ; 16-byte Folded Reload
	s_nop 0
	scratch_load_dwordx4 v[20:23], off, off offset:380 ; 16-byte Folded Reload
	s_waitcnt vmcnt(1)
	v_mul_f64 v[6:7], v[16:17], v[4:5]
	v_fmac_f64_e32 v[6:7], v[14:15], v[2:3]
	v_mul_f64 v[2:3], v[16:17], v[2:3]
	v_fma_f64 v[2:3], v[14:15], v[4:5], -v[2:3]
	v_mad_u64_u32 v[14:15], s[6:7], s4, v1, v[18:19]
	v_mul_f64 v[6:7], v[6:7], s[0:1]
	v_mul_f64 v[8:9], v[2:3], s[0:1]
	v_add_u32_e32 v15, s3, v15
	global_store_dwordx4 v[14:15], v[6:9], off
	scratch_load_dwordx4 v[6:9], off, off offset:348 ; 16-byte Folded Reload
	v_mad_u64_u32 v[14:15], s[6:7], s4, v0, v[14:15]
	scratch_load_dwordx4 v[16:19], off, off offset:316 ; 16-byte Folded Reload
	v_add_u32_e32 v15, s2, v15
	s_waitcnt vmcnt(1) lgkmcnt(0)
	v_mul_f64 v[2:3], v[8:9], v[12:13]
	v_mul_f64 v[4:5], v[8:9], v[10:11]
	v_fmac_f64_e32 v[2:3], v[6:7], v[10:11]
	v_fma_f64 v[4:5], v[6:7], v[12:13], -v[4:5]
	ds_read_b128 v[6:9], v252 offset:4032
	v_mul_f64 v[2:3], v[2:3], s[0:1]
	v_mul_f64 v[4:5], v[4:5], s[0:1]
	global_store_dwordx4 v[14:15], v[2:5], off
	ds_read_b128 v[2:5], v252 offset:5040
	s_waitcnt vmcnt(1) lgkmcnt(1)
	v_mul_f64 v[10:11], v[18:19], v[8:9]
	v_fmac_f64_e32 v[10:11], v[16:17], v[6:7]
	v_mul_f64 v[6:7], v[18:19], v[6:7]
	v_fma_f64 v[6:7], v[16:17], v[8:9], -v[6:7]
	v_mul_f64 v[12:13], v[6:7], s[0:1]
	ds_read_b128 v[6:9], v252 offset:16128
	v_mad_u64_u32 v[18:19], s[6:7], s4, v1, v[14:15]
	v_mul_f64 v[10:11], v[10:11], s[0:1]
	v_add_u32_e32 v19, s3, v19
	global_store_dwordx4 v[18:19], v[10:13], off
	ds_read_b128 v[10:13], v252 offset:17136
	s_waitcnt lgkmcnt(1)
	v_mul_f64 v[14:15], v[22:23], v[8:9]
	v_fmac_f64_e32 v[14:15], v[20:21], v[6:7]
	v_mul_f64 v[6:7], v[22:23], v[6:7]
	v_fma_f64 v[6:7], v[20:21], v[8:9], -v[6:7]
	v_mad_u64_u32 v[18:19], s[6:7], s4, v0, v[18:19]
	v_mul_f64 v[14:15], v[14:15], s[0:1]
	v_mul_f64 v[16:17], v[6:7], s[0:1]
	v_add_u32_e32 v19, s2, v19
	global_store_dwordx4 v[18:19], v[14:17], off
	scratch_load_dwordx4 v[14:17], off, off offset:364 ; 16-byte Folded Reload
	s_waitcnt vmcnt(0)
	v_mul_f64 v[6:7], v[16:17], v[4:5]
	v_fmac_f64_e32 v[6:7], v[14:15], v[2:3]
	v_mul_f64 v[2:3], v[16:17], v[2:3]
	v_fma_f64 v[2:3], v[14:15], v[4:5], -v[2:3]
	v_mad_u64_u32 v[14:15], s[6:7], s4, v1, v[18:19]
	v_mul_f64 v[6:7], v[6:7], s[0:1]
	v_mul_f64 v[8:9], v[2:3], s[0:1]
	v_add_u32_e32 v15, s3, v15
	global_store_dwordx4 v[14:15], v[6:9], off
	scratch_load_dwordx4 v[6:9], off, off offset:332 ; 16-byte Folded Reload
	v_mad_u64_u32 v[14:15], s[6:7], s4, v0, v[14:15]
	scratch_load_dwordx4 v[16:19], off, off offset:300 ; 16-byte Folded Reload
	scratch_load_dwordx4 v[20:23], off, off offset:284 ; 16-byte Folded Reload
	v_add_u32_e32 v15, s2, v15
	s_waitcnt vmcnt(2) lgkmcnt(0)
	v_mul_f64 v[2:3], v[8:9], v[12:13]
	v_mul_f64 v[4:5], v[8:9], v[10:11]
	v_fmac_f64_e32 v[2:3], v[6:7], v[10:11]
	v_fma_f64 v[4:5], v[6:7], v[12:13], -v[4:5]
	ds_read_b128 v[6:9], v252 offset:6048
	v_mul_f64 v[2:3], v[2:3], s[0:1]
	v_mul_f64 v[4:5], v[4:5], s[0:1]
	global_store_dwordx4 v[14:15], v[2:5], off
	ds_read_b128 v[2:5], v252 offset:7056
	s_waitcnt vmcnt(2) lgkmcnt(1)
	v_mul_f64 v[10:11], v[18:19], v[8:9]
	v_fmac_f64_e32 v[10:11], v[16:17], v[6:7]
	v_mul_f64 v[6:7], v[18:19], v[6:7]
	v_fma_f64 v[6:7], v[16:17], v[8:9], -v[6:7]
	v_mul_f64 v[12:13], v[6:7], s[0:1]
	ds_read_b128 v[6:9], v252 offset:18144
	v_mad_u64_u32 v[18:19], s[6:7], s4, v1, v[14:15]
	v_mul_f64 v[10:11], v[10:11], s[0:1]
	v_add_u32_e32 v19, s3, v19
	global_store_dwordx4 v[18:19], v[10:13], off
	ds_read_b128 v[10:13], v252 offset:19152
	s_waitcnt vmcnt(2) lgkmcnt(1)
	v_mul_f64 v[14:15], v[22:23], v[8:9]
	v_fmac_f64_e32 v[14:15], v[20:21], v[6:7]
	v_mul_f64 v[6:7], v[22:23], v[6:7]
	v_fma_f64 v[6:7], v[20:21], v[8:9], -v[6:7]
	v_mad_u64_u32 v[18:19], s[6:7], s4, v0, v[18:19]
	v_mul_f64 v[14:15], v[14:15], s[0:1]
	v_mul_f64 v[16:17], v[6:7], s[0:1]
	v_add_u32_e32 v19, s2, v19
	global_store_dwordx4 v[18:19], v[14:17], off
	scratch_load_dwordx4 v[14:17], off, off offset:268 ; 16-byte Folded Reload
	s_waitcnt vmcnt(0)
	v_mul_f64 v[6:7], v[16:17], v[4:5]
	v_fmac_f64_e32 v[6:7], v[14:15], v[2:3]
	v_mul_f64 v[2:3], v[16:17], v[2:3]
	v_fma_f64 v[2:3], v[14:15], v[4:5], -v[2:3]
	v_mad_u64_u32 v[14:15], s[6:7], s4, v1, v[18:19]
	v_mul_f64 v[6:7], v[6:7], s[0:1]
	v_mul_f64 v[8:9], v[2:3], s[0:1]
	v_add_u32_e32 v15, s3, v15
	global_store_dwordx4 v[14:15], v[6:9], off
	scratch_load_dwordx4 v[6:9], off, off offset:244 ; 16-byte Folded Reload
	v_mad_u64_u32 v[14:15], s[6:7], s4, v0, v[14:15]
	scratch_load_dwordx4 v[16:19], off, off offset:228 ; 16-byte Folded Reload
	scratch_load_dwordx4 v[20:23], off, off offset:212 ; 16-byte Folded Reload
	v_add_u32_e32 v15, s2, v15
	s_waitcnt vmcnt(2) lgkmcnt(0)
	v_mul_f64 v[2:3], v[8:9], v[12:13]
	v_mul_f64 v[4:5], v[8:9], v[10:11]
	v_fmac_f64_e32 v[2:3], v[6:7], v[10:11]
	v_fma_f64 v[4:5], v[6:7], v[12:13], -v[4:5]
	ds_read_b128 v[6:9], v252 offset:8064
	v_mul_f64 v[2:3], v[2:3], s[0:1]
	v_mul_f64 v[4:5], v[4:5], s[0:1]
	global_store_dwordx4 v[14:15], v[2:5], off
	ds_read_b128 v[2:5], v252 offset:9072
	s_waitcnt vmcnt(2) lgkmcnt(1)
	v_mul_f64 v[10:11], v[18:19], v[8:9]
	v_fmac_f64_e32 v[10:11], v[16:17], v[6:7]
	v_mul_f64 v[6:7], v[18:19], v[6:7]
	v_fma_f64 v[6:7], v[16:17], v[8:9], -v[6:7]
	v_mul_f64 v[12:13], v[6:7], s[0:1]
	ds_read_b128 v[6:9], v252 offset:20160
	v_mad_u64_u32 v[18:19], s[6:7], s4, v1, v[14:15]
	v_mul_f64 v[10:11], v[10:11], s[0:1]
	v_add_u32_e32 v19, s3, v19
	global_store_dwordx4 v[18:19], v[10:13], off
	ds_read_b128 v[10:13], v252 offset:21168
	s_waitcnt vmcnt(2) lgkmcnt(1)
	;; [unrolled: 48-line block ×3, first 2 shown]
	v_mul_f64 v[14:15], v[22:23], v[8:9]
	v_fmac_f64_e32 v[14:15], v[20:21], v[6:7]
	v_mul_f64 v[6:7], v[22:23], v[6:7]
	v_fma_f64 v[6:7], v[20:21], v[8:9], -v[6:7]
	v_mad_u64_u32 v[18:19], s[6:7], s4, v0, v[18:19]
	v_mul_f64 v[14:15], v[14:15], s[0:1]
	v_mul_f64 v[16:17], v[6:7], s[0:1]
	v_add_u32_e32 v19, s2, v19
	global_store_dwordx4 v[18:19], v[14:17], off
	scratch_load_dwordx4 v[14:17], off, off offset:44 ; 16-byte Folded Reload
	s_waitcnt vmcnt(0)
	v_mul_f64 v[6:7], v[16:17], v[4:5]
	v_fmac_f64_e32 v[6:7], v[14:15], v[2:3]
	v_mul_f64 v[2:3], v[16:17], v[2:3]
	v_fma_f64 v[2:3], v[14:15], v[4:5], -v[2:3]
	v_mad_u64_u32 v[14:15], s[6:7], s4, v1, v[18:19]
	v_mul_f64 v[6:7], v[6:7], s[0:1]
	v_mul_f64 v[8:9], v[2:3], s[0:1]
	v_add_u32_e32 v15, s3, v15
	global_store_dwordx4 v[14:15], v[6:9], off
	scratch_load_dwordx4 v[6:9], off, off offset:16 ; 16-byte Folded Reload
	s_waitcnt vmcnt(0) lgkmcnt(0)
	v_mul_f64 v[2:3], v[8:9], v[12:13]
	v_mul_f64 v[4:5], v[8:9], v[10:11]
	v_fmac_f64_e32 v[2:3], v[6:7], v[10:11]
	v_fma_f64 v[4:5], v[6:7], v[12:13], -v[4:5]
	v_mul_f64 v[2:3], v[2:3], s[0:1]
	v_mul_f64 v[4:5], v[4:5], s[0:1]
	v_mad_u64_u32 v[0:1], s[0:1], s4, v0, v[14:15]
	v_add_u32_e32 v1, s2, v1
	global_store_dwordx4 v[0:1], v[2:5], off
.LBB0_10:
	s_endpgm
	.section	.rodata,"a",@progbits
	.p2align	6, 0x0
	.amdhsa_kernel bluestein_single_fwd_len1512_dim1_dp_op_CI_CI
		.amdhsa_group_segment_fixed_size 24192
		.amdhsa_private_segment_fixed_size 684
		.amdhsa_kernarg_size 104
		.amdhsa_user_sgpr_count 2
		.amdhsa_user_sgpr_dispatch_ptr 0
		.amdhsa_user_sgpr_queue_ptr 0
		.amdhsa_user_sgpr_kernarg_segment_ptr 1
		.amdhsa_user_sgpr_dispatch_id 0
		.amdhsa_user_sgpr_kernarg_preload_length 0
		.amdhsa_user_sgpr_kernarg_preload_offset 0
		.amdhsa_user_sgpr_private_segment_size 0
		.amdhsa_uses_dynamic_stack 0
		.amdhsa_enable_private_segment 1
		.amdhsa_system_sgpr_workgroup_id_x 1
		.amdhsa_system_sgpr_workgroup_id_y 0
		.amdhsa_system_sgpr_workgroup_id_z 0
		.amdhsa_system_sgpr_workgroup_info 0
		.amdhsa_system_vgpr_workitem_id 0
		.amdhsa_next_free_vgpr 512
		.amdhsa_next_free_sgpr 28
		.amdhsa_accum_offset 256
		.amdhsa_reserve_vcc 1
		.amdhsa_float_round_mode_32 0
		.amdhsa_float_round_mode_16_64 0
		.amdhsa_float_denorm_mode_32 3
		.amdhsa_float_denorm_mode_16_64 3
		.amdhsa_dx10_clamp 1
		.amdhsa_ieee_mode 1
		.amdhsa_fp16_overflow 0
		.amdhsa_tg_split 0
		.amdhsa_exception_fp_ieee_invalid_op 0
		.amdhsa_exception_fp_denorm_src 0
		.amdhsa_exception_fp_ieee_div_zero 0
		.amdhsa_exception_fp_ieee_overflow 0
		.amdhsa_exception_fp_ieee_underflow 0
		.amdhsa_exception_fp_ieee_inexact 0
		.amdhsa_exception_int_div_zero 0
	.end_amdhsa_kernel
	.text
.Lfunc_end0:
	.size	bluestein_single_fwd_len1512_dim1_dp_op_CI_CI, .Lfunc_end0-bluestein_single_fwd_len1512_dim1_dp_op_CI_CI
                                        ; -- End function
	.section	.AMDGPU.csdata,"",@progbits
; Kernel info:
; codeLenInByte = 37424
; NumSgprs: 34
; NumVgprs: 256
; NumAgprs: 256
; TotalNumVgprs: 512
; ScratchSize: 684
; MemoryBound: 0
; FloatMode: 240
; IeeeMode: 1
; LDSByteSize: 24192 bytes/workgroup (compile time only)
; SGPRBlocks: 4
; VGPRBlocks: 63
; NumSGPRsForWavesPerEU: 34
; NumVGPRsForWavesPerEU: 512
; AccumOffset: 256
; Occupancy: 1
; WaveLimiterHint : 1
; COMPUTE_PGM_RSRC2:SCRATCH_EN: 1
; COMPUTE_PGM_RSRC2:USER_SGPR: 2
; COMPUTE_PGM_RSRC2:TRAP_HANDLER: 0
; COMPUTE_PGM_RSRC2:TGID_X_EN: 1
; COMPUTE_PGM_RSRC2:TGID_Y_EN: 0
; COMPUTE_PGM_RSRC2:TGID_Z_EN: 0
; COMPUTE_PGM_RSRC2:TIDIG_COMP_CNT: 0
; COMPUTE_PGM_RSRC3_GFX90A:ACCUM_OFFSET: 63
; COMPUTE_PGM_RSRC3_GFX90A:TG_SPLIT: 0
	.text
	.p2alignl 6, 3212836864
	.fill 256, 4, 3212836864
	.type	__hip_cuid_75d53822928a3dfa,@object ; @__hip_cuid_75d53822928a3dfa
	.section	.bss,"aw",@nobits
	.globl	__hip_cuid_75d53822928a3dfa
__hip_cuid_75d53822928a3dfa:
	.byte	0                               ; 0x0
	.size	__hip_cuid_75d53822928a3dfa, 1

	.ident	"AMD clang version 19.0.0git (https://github.com/RadeonOpenCompute/llvm-project roc-6.4.0 25133 c7fe45cf4b819c5991fe208aaa96edf142730f1d)"
	.section	".note.GNU-stack","",@progbits
	.addrsig
	.addrsig_sym __hip_cuid_75d53822928a3dfa
	.amdgpu_metadata
---
amdhsa.kernels:
  - .agpr_count:     256
    .args:
      - .actual_access:  read_only
        .address_space:  global
        .offset:         0
        .size:           8
        .value_kind:     global_buffer
      - .actual_access:  read_only
        .address_space:  global
        .offset:         8
        .size:           8
        .value_kind:     global_buffer
      - .actual_access:  read_only
        .address_space:  global
        .offset:         16
        .size:           8
        .value_kind:     global_buffer
      - .actual_access:  read_only
        .address_space:  global
        .offset:         24
        .size:           8
        .value_kind:     global_buffer
      - .actual_access:  read_only
        .address_space:  global
        .offset:         32
        .size:           8
        .value_kind:     global_buffer
      - .offset:         40
        .size:           8
        .value_kind:     by_value
      - .address_space:  global
        .offset:         48
        .size:           8
        .value_kind:     global_buffer
      - .address_space:  global
        .offset:         56
        .size:           8
        .value_kind:     global_buffer
      - .address_space:  global
        .offset:         64
        .size:           8
        .value_kind:     global_buffer
      - .address_space:  global
        .offset:         72
        .size:           8
        .value_kind:     global_buffer
      - .offset:         80
        .size:           4
        .value_kind:     by_value
      - .address_space:  global
        .offset:         88
        .size:           8
        .value_kind:     global_buffer
      - .address_space:  global
        .offset:         96
        .size:           8
        .value_kind:     global_buffer
    .group_segment_fixed_size: 24192
    .kernarg_segment_align: 8
    .kernarg_segment_size: 104
    .language:       OpenCL C
    .language_version:
      - 2
      - 0
    .max_flat_workgroup_size: 63
    .name:           bluestein_single_fwd_len1512_dim1_dp_op_CI_CI
    .private_segment_fixed_size: 684
    .sgpr_count:     34
    .sgpr_spill_count: 0
    .symbol:         bluestein_single_fwd_len1512_dim1_dp_op_CI_CI.kd
    .uniform_work_group_size: 1
    .uses_dynamic_stack: false
    .vgpr_count:     512
    .vgpr_spill_count: 170
    .wavefront_size: 64
amdhsa.target:   amdgcn-amd-amdhsa--gfx950
amdhsa.version:
  - 1
  - 2
...

	.end_amdgpu_metadata
